;; amdgpu-corpus repo=ROCm/rocFFT kind=compiled arch=gfx1201 opt=O3
	.text
	.amdgcn_target "amdgcn-amd-amdhsa--gfx1201"
	.amdhsa_code_object_version 6
	.protected	fft_rtc_fwd_len3645_factors_5_3_3_3_3_3_3_wgs_243_tpt_243_halfLds_dp_ip_CI_unitstride_sbrr_dirReg ; -- Begin function fft_rtc_fwd_len3645_factors_5_3_3_3_3_3_3_wgs_243_tpt_243_halfLds_dp_ip_CI_unitstride_sbrr_dirReg
	.globl	fft_rtc_fwd_len3645_factors_5_3_3_3_3_3_3_wgs_243_tpt_243_halfLds_dp_ip_CI_unitstride_sbrr_dirReg
	.p2align	8
	.type	fft_rtc_fwd_len3645_factors_5_3_3_3_3_3_3_wgs_243_tpt_243_halfLds_dp_ip_CI_unitstride_sbrr_dirReg,@function
fft_rtc_fwd_len3645_factors_5_3_3_3_3_3_3_wgs_243_tpt_243_halfLds_dp_ip_CI_unitstride_sbrr_dirReg: ; @fft_rtc_fwd_len3645_factors_5_3_3_3_3_3_3_wgs_243_tpt_243_halfLds_dp_ip_CI_unitstride_sbrr_dirReg
; %bb.0:
	s_clause 0x2
	s_load_b128 s[4:7], s[0:1], 0x0
	s_load_b64 s[8:9], s[0:1], 0x50
	s_load_b64 s[10:11], s[0:1], 0x18
	v_mul_u32_u24_e32 v1, 0x10e, v0
	v_mov_b32_e32 v3, 0
	s_delay_alu instid0(VALU_DEP_2) | instskip(NEXT) | instid1(VALU_DEP_1)
	v_lshrrev_b32_e32 v1, 16, v1
	v_add_nc_u32_e32 v5, ttmp9, v1
	v_mov_b32_e32 v1, 0
	v_mov_b32_e32 v2, 0
	;; [unrolled: 1-line block ×3, first 2 shown]
	s_wait_kmcnt 0x0
	v_cmp_lt_u64_e64 s2, s[6:7], 2
	s_delay_alu instid0(VALU_DEP_1)
	s_and_b32 vcc_lo, exec_lo, s2
	s_cbranch_vccnz .LBB0_8
; %bb.1:
	s_load_b64 s[2:3], s[0:1], 0x10
	v_mov_b32_e32 v1, 0
	v_mov_b32_e32 v2, 0
	s_add_nc_u64 s[12:13], s[10:11], 8
	s_mov_b64 s[14:15], 1
	s_wait_kmcnt 0x0
	s_add_nc_u64 s[16:17], s[2:3], 8
	s_mov_b32 s3, 0
.LBB0_2:                                ; =>This Inner Loop Header: Depth=1
	s_load_b64 s[18:19], s[16:17], 0x0
                                        ; implicit-def: $vgpr7_vgpr8
	s_mov_b32 s2, exec_lo
	s_wait_kmcnt 0x0
	v_or_b32_e32 v4, s19, v6
	s_delay_alu instid0(VALU_DEP_1)
	v_cmpx_ne_u64_e32 0, v[3:4]
	s_wait_alu 0xfffe
	s_xor_b32 s20, exec_lo, s2
	s_cbranch_execz .LBB0_4
; %bb.3:                                ;   in Loop: Header=BB0_2 Depth=1
	s_cvt_f32_u32 s2, s18
	s_cvt_f32_u32 s21, s19
	s_sub_nc_u64 s[24:25], 0, s[18:19]
	s_wait_alu 0xfffe
	s_delay_alu instid0(SALU_CYCLE_1) | instskip(SKIP_1) | instid1(SALU_CYCLE_2)
	s_fmamk_f32 s2, s21, 0x4f800000, s2
	s_wait_alu 0xfffe
	v_s_rcp_f32 s2, s2
	s_delay_alu instid0(TRANS32_DEP_1) | instskip(SKIP_1) | instid1(SALU_CYCLE_2)
	s_mul_f32 s2, s2, 0x5f7ffffc
	s_wait_alu 0xfffe
	s_mul_f32 s21, s2, 0x2f800000
	s_wait_alu 0xfffe
	s_delay_alu instid0(SALU_CYCLE_2) | instskip(SKIP_1) | instid1(SALU_CYCLE_2)
	s_trunc_f32 s21, s21
	s_wait_alu 0xfffe
	s_fmamk_f32 s2, s21, 0xcf800000, s2
	s_cvt_u32_f32 s23, s21
	s_wait_alu 0xfffe
	s_delay_alu instid0(SALU_CYCLE_1) | instskip(SKIP_1) | instid1(SALU_CYCLE_2)
	s_cvt_u32_f32 s22, s2
	s_wait_alu 0xfffe
	s_mul_u64 s[26:27], s[24:25], s[22:23]
	s_wait_alu 0xfffe
	s_mul_hi_u32 s29, s22, s27
	s_mul_i32 s28, s22, s27
	s_mul_hi_u32 s2, s22, s26
	s_mul_i32 s30, s23, s26
	s_wait_alu 0xfffe
	s_add_nc_u64 s[28:29], s[2:3], s[28:29]
	s_mul_hi_u32 s21, s23, s26
	s_mul_hi_u32 s31, s23, s27
	s_add_co_u32 s2, s28, s30
	s_wait_alu 0xfffe
	s_add_co_ci_u32 s2, s29, s21
	s_mul_i32 s26, s23, s27
	s_add_co_ci_u32 s27, s31, 0
	s_wait_alu 0xfffe
	s_add_nc_u64 s[26:27], s[2:3], s[26:27]
	s_wait_alu 0xfffe
	v_add_co_u32 v4, s2, s22, s26
	s_delay_alu instid0(VALU_DEP_1) | instskip(SKIP_1) | instid1(VALU_DEP_1)
	s_cmp_lg_u32 s2, 0
	s_add_co_ci_u32 s23, s23, s27
	v_readfirstlane_b32 s22, v4
	s_wait_alu 0xfffe
	s_delay_alu instid0(VALU_DEP_1)
	s_mul_u64 s[24:25], s[24:25], s[22:23]
	s_wait_alu 0xfffe
	s_mul_hi_u32 s27, s22, s25
	s_mul_i32 s26, s22, s25
	s_mul_hi_u32 s2, s22, s24
	s_mul_i32 s28, s23, s24
	s_wait_alu 0xfffe
	s_add_nc_u64 s[26:27], s[2:3], s[26:27]
	s_mul_hi_u32 s21, s23, s24
	s_mul_hi_u32 s22, s23, s25
	s_wait_alu 0xfffe
	s_add_co_u32 s2, s26, s28
	s_add_co_ci_u32 s2, s27, s21
	s_mul_i32 s24, s23, s25
	s_add_co_ci_u32 s25, s22, 0
	s_wait_alu 0xfffe
	s_add_nc_u64 s[24:25], s[2:3], s[24:25]
	s_wait_alu 0xfffe
	v_add_co_u32 v4, s2, v4, s24
	s_delay_alu instid0(VALU_DEP_1) | instskip(SKIP_1) | instid1(VALU_DEP_1)
	s_cmp_lg_u32 s2, 0
	s_add_co_ci_u32 s2, s23, s25
	v_mul_hi_u32 v13, v5, v4
	s_wait_alu 0xfffe
	v_mad_co_u64_u32 v[7:8], null, v5, s2, 0
	v_mad_co_u64_u32 v[9:10], null, v6, v4, 0
	;; [unrolled: 1-line block ×3, first 2 shown]
	s_delay_alu instid0(VALU_DEP_3) | instskip(SKIP_1) | instid1(VALU_DEP_4)
	v_add_co_u32 v4, vcc_lo, v13, v7
	s_wait_alu 0xfffd
	v_add_co_ci_u32_e32 v7, vcc_lo, 0, v8, vcc_lo
	s_delay_alu instid0(VALU_DEP_2) | instskip(SKIP_1) | instid1(VALU_DEP_2)
	v_add_co_u32 v4, vcc_lo, v4, v9
	s_wait_alu 0xfffd
	v_add_co_ci_u32_e32 v4, vcc_lo, v7, v10, vcc_lo
	s_wait_alu 0xfffd
	v_add_co_ci_u32_e32 v7, vcc_lo, 0, v12, vcc_lo
	s_delay_alu instid0(VALU_DEP_2) | instskip(SKIP_1) | instid1(VALU_DEP_2)
	v_add_co_u32 v4, vcc_lo, v4, v11
	s_wait_alu 0xfffd
	v_add_co_ci_u32_e32 v9, vcc_lo, 0, v7, vcc_lo
	s_delay_alu instid0(VALU_DEP_2) | instskip(SKIP_1) | instid1(VALU_DEP_3)
	v_mul_lo_u32 v10, s19, v4
	v_mad_co_u64_u32 v[7:8], null, s18, v4, 0
	v_mul_lo_u32 v11, s18, v9
	s_delay_alu instid0(VALU_DEP_2) | instskip(NEXT) | instid1(VALU_DEP_2)
	v_sub_co_u32 v7, vcc_lo, v5, v7
	v_add3_u32 v8, v8, v11, v10
	s_delay_alu instid0(VALU_DEP_1) | instskip(SKIP_1) | instid1(VALU_DEP_1)
	v_sub_nc_u32_e32 v10, v6, v8
	s_wait_alu 0xfffd
	v_subrev_co_ci_u32_e64 v10, s2, s19, v10, vcc_lo
	v_add_co_u32 v11, s2, v4, 2
	s_wait_alu 0xf1ff
	v_add_co_ci_u32_e64 v12, s2, 0, v9, s2
	v_sub_co_u32 v13, s2, v7, s18
	v_sub_co_ci_u32_e32 v8, vcc_lo, v6, v8, vcc_lo
	s_wait_alu 0xf1ff
	v_subrev_co_ci_u32_e64 v10, s2, 0, v10, s2
	s_delay_alu instid0(VALU_DEP_3) | instskip(NEXT) | instid1(VALU_DEP_3)
	v_cmp_le_u32_e32 vcc_lo, s18, v13
	v_cmp_eq_u32_e64 s2, s19, v8
	s_wait_alu 0xfffd
	v_cndmask_b32_e64 v13, 0, -1, vcc_lo
	v_cmp_le_u32_e32 vcc_lo, s19, v10
	s_wait_alu 0xfffd
	v_cndmask_b32_e64 v14, 0, -1, vcc_lo
	v_cmp_le_u32_e32 vcc_lo, s18, v7
	;; [unrolled: 3-line block ×3, first 2 shown]
	s_wait_alu 0xfffd
	v_cndmask_b32_e64 v15, 0, -1, vcc_lo
	v_cmp_eq_u32_e32 vcc_lo, s19, v10
	s_wait_alu 0xf1ff
	s_delay_alu instid0(VALU_DEP_2)
	v_cndmask_b32_e64 v7, v15, v7, s2
	s_wait_alu 0xfffd
	v_cndmask_b32_e32 v10, v14, v13, vcc_lo
	v_add_co_u32 v13, vcc_lo, v4, 1
	s_wait_alu 0xfffd
	v_add_co_ci_u32_e32 v14, vcc_lo, 0, v9, vcc_lo
	s_delay_alu instid0(VALU_DEP_3) | instskip(SKIP_2) | instid1(VALU_DEP_3)
	v_cmp_ne_u32_e32 vcc_lo, 0, v10
	s_wait_alu 0xfffd
	v_cndmask_b32_e32 v10, v13, v11, vcc_lo
	v_cndmask_b32_e32 v8, v14, v12, vcc_lo
	v_cmp_ne_u32_e32 vcc_lo, 0, v7
	s_wait_alu 0xfffd
	s_delay_alu instid0(VALU_DEP_2)
	v_dual_cndmask_b32 v7, v4, v10 :: v_dual_cndmask_b32 v8, v9, v8
.LBB0_4:                                ;   in Loop: Header=BB0_2 Depth=1
	s_wait_alu 0xfffe
	s_and_not1_saveexec_b32 s2, s20
	s_cbranch_execz .LBB0_6
; %bb.5:                                ;   in Loop: Header=BB0_2 Depth=1
	v_cvt_f32_u32_e32 v4, s18
	s_sub_co_i32 s20, 0, s18
	s_delay_alu instid0(VALU_DEP_1) | instskip(NEXT) | instid1(TRANS32_DEP_1)
	v_rcp_iflag_f32_e32 v4, v4
	v_mul_f32_e32 v4, 0x4f7ffffe, v4
	s_delay_alu instid0(VALU_DEP_1) | instskip(SKIP_1) | instid1(VALU_DEP_1)
	v_cvt_u32_f32_e32 v4, v4
	s_wait_alu 0xfffe
	v_mul_lo_u32 v7, s20, v4
	s_delay_alu instid0(VALU_DEP_1) | instskip(NEXT) | instid1(VALU_DEP_1)
	v_mul_hi_u32 v7, v4, v7
	v_add_nc_u32_e32 v4, v4, v7
	s_delay_alu instid0(VALU_DEP_1) | instskip(NEXT) | instid1(VALU_DEP_1)
	v_mul_hi_u32 v4, v5, v4
	v_mul_lo_u32 v7, v4, s18
	v_add_nc_u32_e32 v8, 1, v4
	s_delay_alu instid0(VALU_DEP_2) | instskip(NEXT) | instid1(VALU_DEP_1)
	v_sub_nc_u32_e32 v7, v5, v7
	v_subrev_nc_u32_e32 v9, s18, v7
	v_cmp_le_u32_e32 vcc_lo, s18, v7
	s_wait_alu 0xfffd
	s_delay_alu instid0(VALU_DEP_2) | instskip(NEXT) | instid1(VALU_DEP_1)
	v_dual_cndmask_b32 v7, v7, v9 :: v_dual_cndmask_b32 v4, v4, v8
	v_cmp_le_u32_e32 vcc_lo, s18, v7
	s_delay_alu instid0(VALU_DEP_2) | instskip(SKIP_1) | instid1(VALU_DEP_1)
	v_add_nc_u32_e32 v8, 1, v4
	s_wait_alu 0xfffd
	v_dual_cndmask_b32 v7, v4, v8 :: v_dual_mov_b32 v8, v3
.LBB0_6:                                ;   in Loop: Header=BB0_2 Depth=1
	s_wait_alu 0xfffe
	s_or_b32 exec_lo, exec_lo, s2
	s_load_b64 s[20:21], s[12:13], 0x0
	s_delay_alu instid0(VALU_DEP_1)
	v_mul_lo_u32 v4, v8, s18
	v_mul_lo_u32 v11, v7, s19
	v_mad_co_u64_u32 v[9:10], null, v7, s18, 0
	s_add_nc_u64 s[14:15], s[14:15], 1
	s_add_nc_u64 s[12:13], s[12:13], 8
	s_wait_alu 0xfffe
	v_cmp_ge_u64_e64 s2, s[14:15], s[6:7]
	s_add_nc_u64 s[16:17], s[16:17], 8
	s_delay_alu instid0(VALU_DEP_2) | instskip(NEXT) | instid1(VALU_DEP_3)
	v_add3_u32 v4, v10, v11, v4
	v_sub_co_u32 v5, vcc_lo, v5, v9
	s_wait_alu 0xfffd
	s_delay_alu instid0(VALU_DEP_2) | instskip(SKIP_3) | instid1(VALU_DEP_2)
	v_sub_co_ci_u32_e32 v4, vcc_lo, v6, v4, vcc_lo
	s_and_b32 vcc_lo, exec_lo, s2
	s_wait_kmcnt 0x0
	v_mul_lo_u32 v6, s21, v5
	v_mul_lo_u32 v4, s20, v4
	v_mad_co_u64_u32 v[1:2], null, s20, v5, v[1:2]
	s_delay_alu instid0(VALU_DEP_1)
	v_add3_u32 v2, v6, v2, v4
	s_wait_alu 0xfffe
	s_cbranch_vccnz .LBB0_9
; %bb.7:                                ;   in Loop: Header=BB0_2 Depth=1
	v_dual_mov_b32 v5, v7 :: v_dual_mov_b32 v6, v8
	s_branch .LBB0_2
.LBB0_8:
	v_dual_mov_b32 v8, v6 :: v_dual_mov_b32 v7, v5
.LBB0_9:
	s_lshl_b64 s[2:3], s[6:7], 3
	v_mul_hi_u32 v5, 0x10db20b, v0
	s_wait_alu 0xfffe
	s_add_nc_u64 s[2:3], s[10:11], s[2:3]
                                        ; implicit-def: $vgpr10_vgpr11
                                        ; implicit-def: $vgpr14_vgpr15
                                        ; implicit-def: $vgpr26_vgpr27
                                        ; implicit-def: $vgpr30_vgpr31
                                        ; implicit-def: $vgpr50_vgpr51
                                        ; implicit-def: $vgpr22_vgpr23
                                        ; implicit-def: $vgpr42_vgpr43
                                        ; implicit-def: $vgpr54_vgpr55
                                        ; implicit-def: $vgpr34_vgpr35
                                        ; implicit-def: $vgpr38_vgpr39
                                        ; implicit-def: $vgpr46_vgpr47
                                        ; implicit-def: $vgpr58_vgpr59
                                        ; implicit-def: $vgpr18_vgpr19
	s_load_b64 s[2:3], s[2:3], 0x0
	s_load_b64 s[0:1], s[0:1], 0x20
	s_wait_kmcnt 0x0
	v_mul_lo_u32 v3, s2, v8
	v_mul_lo_u32 v4, s3, v7
	v_mad_co_u64_u32 v[1:2], null, s2, v7, v[1:2]
	v_cmp_gt_u64_e32 vcc_lo, s[0:1], v[7:8]
                                        ; implicit-def: $vgpr6_vgpr7
	s_delay_alu instid0(VALU_DEP_2) | instskip(SKIP_1) | instid1(VALU_DEP_2)
	v_add3_u32 v2, v4, v2, v3
	v_mul_u32_u24_e32 v3, 0xf3, v5
	v_lshlrev_b64_e32 v[60:61], 4, v[1:2]
	s_delay_alu instid0(VALU_DEP_2)
	v_sub_nc_u32_e32 v62, v0, v3
                                        ; implicit-def: $vgpr2_vgpr3
	s_and_saveexec_b32 s1, vcc_lo
; %bb.10:
	v_mov_b32_e32 v63, 0
	s_delay_alu instid0(VALU_DEP_3) | instskip(SKIP_2) | instid1(VALU_DEP_3)
	v_add_co_u32 v2, s0, s8, v60
	s_wait_alu 0xf1ff
	v_add_co_ci_u32_e64 v3, s0, s9, v61, s0
	v_lshlrev_b64_e32 v[0:1], 4, v[62:63]
	s_delay_alu instid0(VALU_DEP_1) | instskip(SKIP_1) | instid1(VALU_DEP_2)
	v_add_co_u32 v8, s0, v2, v0
	s_wait_alu 0xf1ff
	v_add_co_ci_u32_e64 v9, s0, v3, v1, s0
	s_clause 0xe
	global_load_b128 v[16:19], v[8:9], off
	global_load_b128 v[32:35], v[8:9], off offset:3888
	global_load_b128 v[44:47], v[8:9], off offset:23328
	;; [unrolled: 1-line block ×14, first 2 shown]
; %bb.11:
	s_wait_alu 0xfffe
	s_or_b32 exec_lo, exec_lo, s1
	s_wait_loadcnt 0x8
	v_add_f64_e32 v[65:66], v[58:59], v[18:19]
	v_add_f64_e32 v[63:64], v[56:57], v[16:17]
	s_wait_loadcnt 0x2
	v_add_f64_e32 v[75:76], v[20:21], v[40:41]
	v_add_f64_e32 v[77:78], v[4:5], v[52:53]
	;; [unrolled: 1-line block ×10, first 2 shown]
	v_add_f64_e64 v[87:88], v[58:59], -v[2:3]
	s_wait_loadcnt 0x1
	v_add_f64_e32 v[89:90], v[12:13], v[24:25]
	s_wait_loadcnt 0x0
	v_add_f64_e32 v[91:92], v[8:9], v[28:29]
	v_add_f64_e32 v[93:94], v[14:15], v[26:27]
	v_add_f64_e64 v[97:98], v[46:47], -v[38:39]
	v_add_f64_e64 v[99:100], v[56:57], -v[44:45]
	;; [unrolled: 1-line block ×10, first 2 shown]
	v_add_f64_e32 v[95:96], v[10:11], v[30:31]
	s_mov_b32 s0, 0x134454ff
	s_mov_b32 s1, 0x3fee6f0e
	;; [unrolled: 1-line block ×3, first 2 shown]
	s_wait_alu 0xfffe
	s_mov_b32 s2, s0
	v_add_f64_e64 v[56:57], v[56:57], -v[0:1]
	v_add_f64_e64 v[52:53], v[52:53], -v[4:5]
	s_mov_b32 s6, 0x4755a5e
	s_mov_b32 s7, 0x3fe2cf23
	;; [unrolled: 1-line block ×3, first 2 shown]
	s_wait_alu 0xfffe
	s_mov_b32 s10, s6
	v_add_f64_e32 v[65:66], v[46:47], v[65:66]
	v_add_f64_e64 v[46:47], v[46:47], -v[58:59]
	v_add_f64_e64 v[58:59], v[36:37], -v[0:1]
	v_add_f64_e32 v[63:64], v[44:45], v[63:64]
	v_fma_f64 v[75:76], v[75:76], -0.5, v[32:33]
	v_fma_f64 v[32:33], v[77:78], -0.5, v[32:33]
	;; [unrolled: 1-line block ×3, first 2 shown]
	v_add_f64_e64 v[79:80], v[40:41], -v[20:21]
	v_add_f64_e32 v[40:41], v[40:41], v[83:84]
	v_add_f64_e32 v[83:84], v[30:31], v[50:51]
	v_fma_f64 v[67:68], v[67:68], -0.5, v[16:17]
	v_fma_f64 v[16:17], v[69:70], -0.5, v[16:17]
	;; [unrolled: 1-line block ×4, first 2 shown]
	v_add_f64_e64 v[71:72], v[54:55], -v[42:43]
	v_add_f64_e64 v[54:55], v[42:43], -v[54:55]
	;; [unrolled: 1-line block ×3, first 2 shown]
	v_fma_f64 v[34:35], v[81:82], -0.5, v[34:35]
	v_add_f64_e32 v[81:82], v[28:29], v[48:49]
	v_add_f64_e32 v[42:43], v[42:43], v[85:86]
	v_fma_f64 v[89:90], v[89:90], -0.5, v[48:49]
	v_fma_f64 v[48:49], v[91:92], -0.5, v[48:49]
	;; [unrolled: 1-line block ×3, first 2 shown]
	v_add_f64_e64 v[93:94], v[30:31], -v[10:11]
	v_add_f64_e32 v[99:100], v[101:102], v[99:100]
	v_add_f64_e64 v[101:102], v[20:21], -v[4:5]
	v_add_f64_e32 v[105:106], v[107:108], v[105:106]
	v_add_f64_e64 v[107:108], v[22:23], -v[6:7]
	v_add_f64_e64 v[44:45], v[44:45], -v[36:37]
	;; [unrolled: 1-line block ×3, first 2 shown]
	v_fma_f64 v[50:51], v[95:96], -0.5, v[50:51]
	v_add_f64_e64 v[95:96], v[24:25], -v[28:29]
	v_add_f64_e64 v[28:29], v[28:29], -v[8:9]
	v_add_f64_e32 v[38:39], v[38:39], v[65:66]
	v_add_f64_e64 v[65:66], v[4:5], -v[20:21]
	v_add_f64_e32 v[58:59], v[58:59], v[103:104]
	;; [unrolled: 2-line block ×3, first 2 shown]
	v_add_f64_e64 v[63:64], v[30:31], -v[26:27]
	v_add_f64_e64 v[30:31], v[26:27], -v[30:31]
	v_add_f64_e32 v[46:47], v[109:110], v[46:47]
	v_add_f64_e64 v[109:110], v[8:9], -v[12:13]
	v_add_f64_e32 v[83:84], v[26:27], v[83:84]
	v_add_f64_e64 v[26:27], v[26:27], -v[14:15]
	v_add_f64_e32 v[20:21], v[20:21], v[40:41]
	v_fma_f64 v[40:41], v[73:74], s[2:3], v[32:33]
	v_fma_f64 v[32:33], v[73:74], s[0:1], v[32:33]
	v_add_f64_e32 v[81:82], v[24:25], v[81:82]
	v_add_f64_e32 v[22:23], v[22:23], v[42:43]
	v_add_f64_e64 v[24:25], v[24:25], -v[12:13]
	v_fma_f64 v[42:43], v[93:94], s[0:1], v[89:90]
	v_fma_f64 v[89:90], v[93:94], s[2:3], v[89:90]
	v_add_f64_e32 v[101:102], v[101:102], v[115:116]
	v_fma_f64 v[115:116], v[97:98], s[2:3], v[16:17]
	v_fma_f64 v[16:17], v[97:98], s[0:1], v[16:17]
	v_add_f64_e32 v[54:55], v[107:108], v[54:55]
	v_add_f64_e64 v[107:108], v[12:13], -v[8:9]
	v_add_f64_e32 v[65:66], v[65:66], v[113:114]
	v_fma_f64 v[113:114], v[87:88], s[0:1], v[67:68]
	v_fma_f64 v[67:68], v[87:88], s[2:3], v[67:68]
	v_add_f64_e32 v[71:72], v[103:104], v[71:72]
	v_fma_f64 v[103:104], v[111:112], s[0:1], v[75:76]
	v_fma_f64 v[75:76], v[111:112], s[2:3], v[75:76]
	v_add_f64_e32 v[0:1], v[0:1], v[36:37]
	v_add_f64_e32 v[85:86], v[109:110], v[85:86]
	v_fma_f64 v[109:110], v[26:27], s[2:3], v[48:49]
	v_fma_f64 v[48:49], v[26:27], s[0:1], v[48:49]
	v_add_f64_e32 v[4:5], v[4:5], v[20:21]
	v_fma_f64 v[40:41], v[111:112], s[6:7], v[40:41]
	v_fma_f64 v[32:33], v[111:112], s[10:11], v[32:33]
	v_add_f64_e64 v[111:112], v[14:15], -v[10:11]
	v_add_f64_e32 v[12:13], v[12:13], v[81:82]
	v_add_f64_e32 v[22:23], v[6:7], v[22:23]
	v_fma_f64 v[42:43], v[26:27], s[6:7], v[42:43]
	v_fma_f64 v[26:27], v[26:27], s[10:11], v[89:90]
	;; [unrolled: 1-line block ×8, first 2 shown]
	v_add_f64_e32 v[95:96], v[107:108], v[95:96]
	v_fma_f64 v[107:108], v[79:80], s[0:1], v[34:35]
	v_fma_f64 v[34:35], v[79:80], s[2:3], v[34:35]
	;; [unrolled: 1-line block ×4, first 2 shown]
	v_add_f64_e64 v[97:98], v[10:11], -v[14:15]
	v_fma_f64 v[103:104], v[73:74], s[6:7], v[103:104]
	v_fma_f64 v[73:74], v[73:74], s[10:11], v[75:76]
	;; [unrolled: 1-line block ×4, first 2 shown]
	v_add_f64_e32 v[14:15], v[14:15], v[83:84]
	v_fma_f64 v[109:110], v[93:94], s[6:7], v[109:110]
	v_fma_f64 v[48:49], v[93:94], s[10:11], v[48:49]
	;; [unrolled: 1-line block ×4, first 2 shown]
	v_add_f64_e32 v[30:31], v[111:112], v[30:31]
	v_add_f64_e32 v[8:9], v[8:9], v[12:13]
	v_fma_f64 v[36:37], v[44:45], s[10:11], v[87:88]
	v_fma_f64 v[44:45], v[44:45], s[6:7], v[69:70]
	v_add_f64_e32 v[63:64], v[97:98], v[63:64]
	v_fma_f64 v[97:98], v[24:25], s[0:1], v[50:51]
	v_fma_f64 v[50:51], v[24:25], s[2:3], v[50:51]
	;; [unrolled: 1-line block ×8, first 2 shown]
	s_mov_b32 s0, 0x372fe950
	v_fma_f64 v[79:80], v[24:25], s[10:11], v[93:94]
	s_mov_b32 s1, 0x3fd3c6ef
	v_fma_f64 v[24:25], v[24:25], s[6:7], v[91:92]
	s_wait_alu 0xfffe
	v_fma_f64 v[83:84], v[58:59], s[0:1], v[115:116]
	v_fma_f64 v[16:17], v[58:59], s[0:1], v[16:17]
	;; [unrolled: 1-line block ×11, first 2 shown]
	v_add_f64_e32 v[65:66], v[2:3], v[38:39]
	v_fma_f64 v[73:74], v[105:106], s[0:1], v[36:37]
	v_mad_u32_u24 v93, v62, 40, 0
	v_add_f64_e32 v[67:68], v[10:11], v[14:15]
	v_fma_f64 v[85:86], v[105:106], s[0:1], v[44:45]
	v_lshlrev_b32_e32 v34, 5, v62
	v_add_nc_u32_e32 v44, 0x2d9, v62
	v_add_nc_u32_e32 v94, 0x25f8, v93
	;; [unrolled: 1-line block ×4, first 2 shown]
	v_sub_nc_u32_e32 v34, v93, v34
	s_mov_b32 s2, 0xe8584caa
	s_mov_b32 s3, 0x3febb67a
	v_fma_f64 v[81:82], v[28:29], s[10:11], v[97:98]
	v_fma_f64 v[28:29], v[28:29], s[6:7], v[50:51]
	;; [unrolled: 1-line block ×10, first 2 shown]
	v_add_nc_u32_e32 v97, 0x4c00, v93
	v_fma_f64 v[24:25], v[63:64], s[0:1], v[24:25]
	v_add_nc_u32_e32 v38, 0x2d80, v34
	v_add_nc_u32_e32 v35, 0xf00, v34
	;; [unrolled: 1-line block ×5, first 2 shown]
	s_mov_b32 s7, 0xbfebb67a
	s_wait_alu 0xfffe
	s_mov_b32 s6, s2
	ds_store_2addr_b64 v93, v[0:1], v[50:51] offset1:1
	ds_store_2addr_b64 v93, v[83:84], v[16:17] offset0:2 offset1:3
	ds_store_2addr_b64 v94, v[4:5], v[87:88] offset1:1
	ds_store_2addr_b64 v95, v[40:41], v[32:33] offset1:1
	;; [unrolled: 1-line block ×4, first 2 shown]
	ds_store_b64 v93, v[42:43] offset:32
	ds_store_b64 v93, v[48:49] offset:9752
	;; [unrolled: 1-line block ×3, first 2 shown]
	v_fma_f64 v[63:64], v[30:31], s[0:1], v[81:82]
	v_fma_f64 v[81:82], v[30:31], s[0:1], v[28:29]
	v_and_b32_e32 v16, 0xff, v62
	v_add_nc_u32_e32 v41, 0xf3, v62
	v_add_nc_u32_e32 v40, 0x3c80, v34
	global_wb scope:SCOPE_SE
	s_wait_dscnt 0x0
	s_barrier_signal -1
	v_mul_lo_u16 v8, 0xcd, v16
	v_and_b32_e32 v15, 0xffff, v41
	s_barrier_wait -1
	global_inv scope:SCOPE_SE
	ds_load_2addr_b64 v[4:7], v34 offset1:243
	ds_load_2addr_b64 v[0:3], v36 offset0:12 offset1:255
	ds_load_2addr_b64 v[27:30], v37 offset0:6 offset1:249
	v_lshrrev_b16 v18, 10, v8
	ds_load_2addr_b64 v[45:48], v38 offset0:2 offset1:245
	ds_load_2addr_b64 v[8:11], v35 offset0:6 offset1:249
	;; [unrolled: 1-line block ×4, first 2 shown]
	ds_load_b64 v[31:32], v34 offset:27216
	global_wb scope:SCOPE_SE
	s_wait_dscnt 0x0
	s_barrier_signal -1
	v_mul_lo_u16 v12, v18, 5
	s_barrier_wait -1
	v_mul_u32_u24_e32 v13, 0xcccd, v15
	global_inv scope:SCOPE_SE
	ds_store_2addr_b64 v93, v[65:66], v[73:74] offset1:1
	ds_store_2addr_b64 v93, v[69:70], v[89:90] offset0:2 offset1:3
	v_sub_nc_u16 v12, v62, v12
	ds_store_2addr_b64 v94, v[22:23], v[91:92] offset1:1
	ds_store_2addr_b64 v95, v[75:76], v[77:78] offset1:1
	v_lshrrev_b32_e32 v20, 18, v13
	v_add_nc_u32_e32 v43, 0x1e6, v62
	v_add_nc_u32_e32 v42, 0x3cc, v62
	v_and_b32_e32 v22, 0xff, v12
	v_and_b32_e32 v18, 0xffff, v18
	ds_store_2addr_b64 v96, v[67:68], v[79:80] offset1:1
	ds_store_2addr_b64 v97, v[63:64], v[81:82] offset1:1
	v_lshlrev_b32_e32 v17, 5, v22
	v_mul_lo_u16 v12, v20, 5
	ds_store_b64 v93, v[85:86] offset:32
	ds_store_b64 v93, v[71:72] offset:9752
	ds_store_b64 v93, v[24:25] offset:19472
	global_wb scope:SCOPE_SE
	s_wait_dscnt 0x0
	s_barrier_signal -1
	s_barrier_wait -1
	global_inv scope:SCOPE_SE
	s_clause 0x1
	global_load_b128 v[63:66], v17, s[4:5] offset:16
	global_load_b128 v[87:90], v17, s[4:5]
	v_sub_nc_u16 v12, v41, v12
	v_and_b32_e32 v14, 0xffff, v43
	v_mul_u32_u24_e32 v18, 0x78, v18
	v_lshlrev_b32_e32 v22, 3, v22
	v_cmp_gt_u32_e64 s0, 0x87, v62
	v_and_b32_e32 v21, 0xffff, v12
	v_mul_u32_u24_e32 v13, 0xcccd, v14
	s_delay_alu instid0(VALU_DEP_4) | instskip(NEXT) | instid1(VALU_DEP_3)
	v_add3_u32 v18, 0, v18, v22
	v_lshlrev_b32_e32 v12, 5, v21
	s_delay_alu instid0(VALU_DEP_3)
	v_lshrrev_b32_e32 v24, 18, v13
	v_lshlrev_b32_e32 v21, 3, v21
	s_clause 0x1
	global_load_b128 v[67:70], v12, s[4:5] offset:16
	global_load_b128 v[71:74], v12, s[4:5]
	v_mul_lo_u16 v13, v24, 5
	v_and_b32_e32 v12, 0xffff, v44
	v_mul_u32_u24_e32 v24, 0x78, v24
	s_delay_alu instid0(VALU_DEP_3) | instskip(NEXT) | instid1(VALU_DEP_3)
	v_sub_nc_u16 v13, v43, v13
	v_mul_u32_u24_e32 v19, 0xcccd, v12
	s_delay_alu instid0(VALU_DEP_2) | instskip(NEXT) | instid1(VALU_DEP_2)
	v_and_b32_e32 v23, 0xffff, v13
	v_lshrrev_b32_e32 v26, 18, v19
	s_delay_alu instid0(VALU_DEP_2) | instskip(NEXT) | instid1(VALU_DEP_2)
	v_lshlrev_b32_e32 v13, 5, v23
	v_mul_lo_u16 v19, v26, 5
	v_lshlrev_b32_e32 v23, 3, v23
	v_mul_u32_u24_e32 v26, 0x78, v26
	s_clause 0x1
	global_load_b128 v[75:78], v13, s[4:5]
	global_load_b128 v[79:82], v13, s[4:5] offset:16
	v_and_b32_e32 v13, 0xffff, v42
	v_sub_nc_u16 v19, v44, v19
	s_delay_alu instid0(VALU_DEP_2) | instskip(NEXT) | instid1(VALU_DEP_2)
	v_mul_u32_u24_e32 v33, 0xcccd, v13
	v_and_b32_e32 v25, 0xffff, v19
	s_delay_alu instid0(VALU_DEP_2) | instskip(NEXT) | instid1(VALU_DEP_2)
	v_lshrrev_b32_e32 v33, 18, v33
	v_lshlrev_b32_e32 v19, 5, v25
	v_lshlrev_b32_e32 v25, 3, v25
	s_delay_alu instid0(VALU_DEP_3)
	v_mul_lo_u16 v17, v33, 5
	s_clause 0x1
	global_load_b128 v[83:86], v19, s[4:5] offset:16
	global_load_b128 v[91:94], v19, s[4:5]
	v_mul_u32_u24_e32 v19, 0x8889, v15
	v_mul_u32_u24_e32 v33, 0x78, v33
	v_sub_nc_u16 v17, v42, v17
	s_delay_alu instid0(VALU_DEP_3) | instskip(NEXT) | instid1(VALU_DEP_2)
	v_lshrrev_b32_e32 v19, 19, v19
	v_and_b32_e32 v59, 0xffff, v17
	s_delay_alu instid0(VALU_DEP_1)
	v_lshlrev_b32_e32 v17, 5, v59
	s_clause 0x1
	global_load_b128 v[95:98], v17, s[4:5]
	global_load_b128 v[99:102], v17, s[4:5] offset:16
	ds_load_2addr_b64 v[103:106], v37 offset0:6 offset1:249
	ds_load_2addr_b64 v[107:110], v38 offset0:2 offset1:245
	v_mul_lo_u16 v17, 0x89, v16
	v_lshlrev_b32_e32 v59, 3, v59
	v_mul_lo_u16 v16, 0x6d, v16
	s_delay_alu instid0(VALU_DEP_3) | instskip(NEXT) | instid1(VALU_DEP_3)
	v_lshrrev_b16 v17, 11, v17
	v_add3_u32 v33, 0, v33, v59
	s_delay_alu instid0(VALU_DEP_3)
	v_lshrrev_b16 v16, 8, v16
	s_wait_loadcnt_dscnt 0x901
	v_mul_f64_e32 v[57:58], v[103:104], v[65:66]
	v_mul_f64_e32 v[65:66], v[27:28], v[65:66]
	s_wait_loadcnt 0x7
	v_mul_f64_e32 v[111:112], v[105:106], v[69:70]
	v_mul_f64_e32 v[69:70], v[29:30], v[69:70]
	s_wait_loadcnt_dscnt 0x600
	v_mul_f64_e32 v[113:114], v[107:108], v[73:74]
	v_fma_f64 v[57:58], v[27:28], v[63:64], -v[57:58]
	v_fma_f64 v[103:104], v[103:104], v[63:64], v[65:66]
	v_mul_f64_e32 v[63:64], v[45:46], v[73:74]
	s_wait_loadcnt 0x5
	v_mul_f64_e32 v[73:74], v[109:110], v[77:78]
	v_fma_f64 v[111:112], v[29:30], v[67:68], -v[111:112]
	v_fma_f64 v[67:68], v[105:106], v[67:68], v[69:70]
	v_mul_f64_e32 v[69:70], v[47:48], v[77:78]
	ds_load_2addr_b64 v[27:30], v39 offset0:4 offset1:247
	v_fma_f64 v[105:106], v[45:46], v[71:72], -v[113:114]
	v_fma_f64 v[71:72], v[107:108], v[71:72], v[63:64]
	ds_load_2addr_b64 v[63:66], v36 offset0:12 offset1:255
	s_wait_loadcnt_dscnt 0x401
	v_mul_f64_e32 v[77:78], v[27:28], v[81:82]
	v_mul_f64_e32 v[81:82], v[49:50], v[81:82]
	v_fma_f64 v[73:74], v[47:48], v[75:76], -v[73:74]
	ds_load_2addr_b64 v[45:48], v40 offset0:8 offset1:251
	s_wait_loadcnt 0x3
	v_mul_f64_e32 v[107:108], v[29:30], v[85:86]
	v_fma_f64 v[69:70], v[109:110], v[75:76], v[69:70]
	ds_load_b64 v[109:110], v34 offset:27216
	s_wait_dscnt 0x2
	v_mul_f64_e32 v[75:76], v[65:66], v[89:90]
	v_mul_f64_e32 v[89:90], v[2:3], v[89:90]
	s_wait_loadcnt_dscnt 0x201
	v_mul_f64_e32 v[113:114], v[45:46], v[93:94]
	v_fma_f64 v[49:50], v[49:50], v[79:80], -v[77:78]
	v_fma_f64 v[77:78], v[27:28], v[79:80], v[81:82]
	v_mul_f64_e32 v[27:28], v[51:52], v[85:86]
	v_mul_f64_e32 v[79:80], v[53:54], v[93:94]
	s_wait_loadcnt 0x1
	v_mul_f64_e32 v[81:82], v[47:48], v[97:98]
	s_wait_loadcnt_dscnt 0x0
	v_mul_f64_e32 v[85:86], v[109:110], v[101:102]
	v_fma_f64 v[51:52], v[51:52], v[83:84], -v[107:108]
	v_fma_f64 v[2:3], v[2:3], v[87:88], -v[75:76]
	v_fma_f64 v[65:66], v[65:66], v[87:88], v[89:90]
	v_mul_f64_e32 v[75:76], v[55:56], v[97:98]
	v_mul_f64_e32 v[87:88], v[31:32], v[101:102]
	v_fma_f64 v[53:54], v[53:54], v[91:92], -v[113:114]
	v_mul_u32_u24_e32 v114, 0x78, v20
	v_mul_lo_u16 v113, v17, 15
	v_and_b32_e32 v17, 0xffff, v17
	s_delay_alu instid0(VALU_DEP_2) | instskip(SKIP_1) | instid1(VALU_DEP_2)
	v_sub_nc_u16 v20, v62, v113
	v_mul_lo_u16 v113, v19, 15
	v_and_b32_e32 v20, 0xff, v20
	s_delay_alu instid0(VALU_DEP_2)
	v_sub_nc_u16 v113, v41, v113
	v_add_f64_e32 v[93:94], v[73:74], v[49:50]
	v_add_f64_e32 v[97:98], v[69:70], v[77:78]
	v_fma_f64 v[83:84], v[29:30], v[83:84], v[27:28]
	v_fma_f64 v[79:80], v[45:46], v[91:92], v[79:80]
	v_fma_f64 v[55:56], v[55:56], v[95:96], -v[81:82]
	v_fma_f64 v[31:32], v[31:32], v[99:100], -v[85:86]
	ds_load_2addr_b64 v[27:30], v34 offset1:243
	v_add_f64_e32 v[85:86], v[105:106], v[111:112]
	v_add_f64_e32 v[91:92], v[71:72], v[67:68]
	v_lshlrev_b32_e32 v115, 5, v20
	v_add_f64_e32 v[81:82], v[2:3], v[57:58]
	v_add_f64_e32 v[89:90], v[65:66], v[103:104]
	v_fma_f64 v[75:76], v[47:48], v[95:96], v[75:76]
	v_fma_f64 v[87:88], v[109:110], v[99:100], v[87:88]
	v_add_f64_e32 v[95:96], v[53:54], v[51:52]
	v_add_f64_e32 v[107:108], v[4:5], v[2:3]
	ds_load_2addr_b64 v[45:48], v35 offset0:6 offset1:249
	v_add_f64_e32 v[109:110], v[6:7], v[105:106]
	v_add_f64_e64 v[2:3], v[2:3], -v[57:58]
	v_add_f64_e64 v[105:106], v[105:106], -v[111:112]
	global_wb scope:SCOPE_SE
	s_wait_dscnt 0x0
	s_barrier_signal -1
	s_barrier_wait -1
	global_inv scope:SCOPE_SE
	v_add_f64_e32 v[99:100], v[79:80], v[83:84]
	v_add_f64_e32 v[101:102], v[55:56], v[31:32]
	v_fma_f64 v[6:7], v[85:86], -0.5, v[6:7]
	v_add_f64_e32 v[85:86], v[29:30], v[71:72]
	v_fma_f64 v[29:30], v[91:92], -0.5, v[29:30]
	;; [unrolled: 2-line block ×3, first 2 shown]
	v_add_f64_e64 v[71:72], v[71:72], -v[67:68]
	v_add_f64_e64 v[73:74], v[73:74], -v[49:50]
	v_fma_f64 v[4:5], v[81:82], -0.5, v[4:5]
	v_add_f64_e32 v[81:82], v[27:28], v[65:66]
	v_fma_f64 v[27:28], v[89:90], -0.5, v[27:28]
	v_add_f64_e32 v[89:90], v[75:76], v[87:88]
	;; [unrolled: 2-line block ×3, first 2 shown]
	v_add_f64_e32 v[95:96], v[45:46], v[69:70]
	v_fma_f64 v[45:46], v[97:98], -0.5, v[45:46]
	v_add_f64_e64 v[65:66], v[65:66], -v[103:104]
	v_add_f64_e64 v[69:70], v[69:70], -v[77:78]
	;; [unrolled: 1-line block ×3, first 2 shown]
	v_add_f64_e32 v[57:58], v[107:108], v[57:58]
	v_fma_f64 v[97:98], v[99:100], -0.5, v[47:48]
	v_add_f64_e32 v[99:100], v[0:1], v[55:56]
	v_add_f64_e32 v[47:48], v[47:48], v[79:80]
	v_fma_f64 v[0:1], v[101:102], -0.5, v[0:1]
	v_add_f64_e64 v[101:102], v[75:76], -v[87:88]
	v_add_f64_e32 v[75:76], v[63:64], v[75:76]
	v_add_f64_e64 v[79:80], v[79:80], -v[83:84]
	v_add_f64_e64 v[55:56], v[55:56], -v[31:32]
	v_add_f64_e32 v[49:50], v[91:92], v[49:50]
	v_fma_f64 v[63:64], v[89:90], -0.5, v[63:64]
	v_add_f64_e32 v[89:90], v[109:110], v[111:112]
	v_add_f64_e32 v[10:11], v[10:11], v[51:52]
	v_fma_f64 v[51:52], v[65:66], s[2:3], v[4:5]
	s_wait_alu 0xfffe
	v_fma_f64 v[4:5], v[65:66], s[6:7], v[4:5]
	v_fma_f64 v[65:66], v[71:72], s[2:3], v[6:7]
	;; [unrolled: 1-line block ×5, first 2 shown]
	v_add_f64_e32 v[31:32], v[99:100], v[31:32]
	v_add3_u32 v99, 0, v114, v21
	v_add_f64_e32 v[21:22], v[81:82], v[103:104]
	v_fma_f64 v[81:82], v[2:3], s[6:7], v[27:28]
	v_add3_u32 v100, 0, v24, v23
	v_add_f64_e32 v[23:24], v[85:86], v[67:68]
	v_add_f64_e32 v[67:68], v[95:96], v[77:78]
	;; [unrolled: 1-line block ×3, first 2 shown]
	v_fma_f64 v[83:84], v[2:3], s[2:3], v[27:28]
	v_fma_f64 v[85:86], v[105:106], s[6:7], v[29:30]
	v_add_f64_e32 v[75:76], v[75:76], v[87:88]
	v_fma_f64 v[87:88], v[105:106], s[2:3], v[29:30]
	v_fma_f64 v[69:70], v[79:80], s[2:3], v[93:94]
	;; [unrolled: 1-line block ×11, first 2 shown]
	v_add3_u32 v101, 0, v26, v25
	ds_store_2addr_b64 v18, v[57:58], v[51:52] offset1:5
	ds_store_b64 v18, v[4:5] offset:80
	ds_store_2addr_b64 v99, v[89:90], v[65:66] offset1:5
	ds_store_b64 v99, v[6:7] offset:80
	;; [unrolled: 2-line block ×5, first 2 shown]
	global_wb scope:SCOPE_SE
	s_wait_dscnt 0x0
	s_barrier_signal -1
	s_barrier_wait -1
	global_inv scope:SCOPE_SE
	ds_load_2addr_b64 v[8:11], v34 offset1:243
	ds_load_2addr_b64 v[0:3], v36 offset0:12 offset1:255
	ds_load_2addr_b64 v[25:28], v37 offset0:6 offset1:249
	;; [unrolled: 1-line block ×6, first 2 shown]
	ds_load_b64 v[103:104], v34 offset:27216
	global_wb scope:SCOPE_SE
	s_wait_dscnt 0x0
	s_barrier_signal -1
	s_barrier_wait -1
	global_inv scope:SCOPE_SE
	ds_store_2addr_b64 v18, v[21:22], v[81:82] offset1:5
	ds_store_b64 v18, v[83:84] offset:80
	ds_store_2addr_b64 v99, v[23:24], v[85:86] offset1:5
	ds_store_b64 v99, v[87:88] offset:80
	;; [unrolled: 2-line block ×5, first 2 shown]
	global_wb scope:SCOPE_SE
	s_wait_dscnt 0x0
	s_barrier_signal -1
	s_barrier_wait -1
	global_inv scope:SCOPE_SE
	global_load_b128 v[53:56], v115, s[4:5] offset:176
	v_and_b32_e32 v21, 0xffff, v113
	v_mul_u32_u24_e32 v22, 0x8889, v14
	v_mul_u32_u24_e32 v33, 0x8889, v13
	s_delay_alu instid0(VALU_DEP_3) | instskip(NEXT) | instid1(VALU_DEP_3)
	v_lshlrev_b32_e32 v18, 5, v21
	v_lshrrev_b32_e32 v23, 19, v22
	s_delay_alu instid0(VALU_DEP_3)
	v_lshrrev_b32_e32 v33, 19, v33
	s_clause 0x1
	global_load_b128 v[63:66], v18, s[4:5] offset:176
	global_load_b128 v[67:70], v18, s[4:5] offset:160
	v_mul_lo_u16 v22, v23, 15
	v_mul_lo_u16 v57, v33, 15
	v_mul_u32_u24_e32 v114, 0x168, v23
	v_mul_u32_u24_e32 v33, 0x168, v33
	s_delay_alu instid0(VALU_DEP_4) | instskip(NEXT) | instid1(VALU_DEP_4)
	v_sub_nc_u16 v22, v43, v22
	v_sub_nc_u16 v57, v42, v57
	s_delay_alu instid0(VALU_DEP_2) | instskip(NEXT) | instid1(VALU_DEP_2)
	v_and_b32_e32 v22, 0xffff, v22
	v_and_b32_e32 v113, 0xffff, v57
	s_delay_alu instid0(VALU_DEP_2)
	v_lshlrev_b32_e32 v18, 5, v22
	s_clause 0x1
	global_load_b128 v[71:74], v18, s[4:5] offset:160
	global_load_b128 v[75:78], v18, s[4:5] offset:176
	v_mul_u32_u24_e32 v18, 0x8889, v12
	global_load_b128 v[79:82], v115, s[4:5] offset:160
	v_lshlrev_b32_e32 v22, 3, v22
	v_lshrrev_b32_e32 v24, 19, v18
	s_delay_alu instid0(VALU_DEP_1) | instskip(SKIP_1) | instid1(VALU_DEP_2)
	v_mul_lo_u16 v18, v24, 15
	v_mul_u32_u24_e32 v115, 0x168, v24
	v_sub_nc_u16 v18, v44, v18
	s_delay_alu instid0(VALU_DEP_1) | instskip(NEXT) | instid1(VALU_DEP_1)
	v_and_b32_e32 v59, 0xffff, v18
	v_lshlrev_b32_e32 v18, 5, v59
	v_lshlrev_b32_e32 v59, 3, v59
	s_clause 0x1
	global_load_b128 v[83:86], v18, s[4:5] offset:176
	global_load_b128 v[87:90], v18, s[4:5] offset:160
	v_lshlrev_b32_e32 v18, 5, v113
	s_clause 0x1
	global_load_b128 v[91:94], v18, s[4:5] offset:160
	global_load_b128 v[95:98], v18, s[4:5] offset:176
	ds_load_2addr_b64 v[99:102], v37 offset0:6 offset1:249
	v_sub_nc_u16 v18, v62, v16
	v_add3_u32 v59, 0, v115, v59
	s_delay_alu instid0(VALU_DEP_2)
	v_lshrrev_b16 v18, 1, v18
	s_wait_loadcnt_dscnt 0x900
	v_mul_f64_e32 v[105:106], v[99:100], v[55:56]
	v_mul_f64_e32 v[107:108], v[25:26], v[55:56]
	ds_load_2addr_b64 v[55:58], v38 offset0:2 offset1:245
	s_wait_loadcnt 0x8
	v_mul_f64_e32 v[109:110], v[101:102], v[65:66]
	v_mul_f64_e32 v[65:66], v[27:28], v[65:66]
	s_wait_loadcnt_dscnt 0x700
	v_mul_f64_e32 v[111:112], v[55:56], v[69:70]
	v_mul_f64_e32 v[69:70], v[29:30], v[69:70]
	v_fma_f64 v[105:106], v[25:26], v[53:54], -v[105:106]
	v_fma_f64 v[53:54], v[99:100], v[53:54], v[107:108]
	s_wait_loadcnt 0x6
	v_mul_f64_e32 v[99:100], v[57:58], v[73:74]
	v_mul_f64_e32 v[73:74], v[31:32], v[73:74]
	v_fma_f64 v[107:108], v[27:28], v[63:64], -v[109:110]
	ds_load_2addr_b64 v[25:28], v39 offset0:4 offset1:247
	v_fma_f64 v[101:102], v[101:102], v[63:64], v[65:66]
	ds_load_2addr_b64 v[63:66], v36 offset0:12 offset1:255
	v_fma_f64 v[111:112], v[29:30], v[67:68], -v[111:112]
	v_fma_f64 v[55:56], v[55:56], v[67:68], v[69:70]
	s_wait_loadcnt 0x5
	v_mul_f64_e32 v[67:68], v[45:46], v[77:78]
	s_wait_dscnt 0x1
	v_mul_f64_e32 v[109:110], v[25:26], v[77:78]
	s_wait_loadcnt_dscnt 0x400
	v_mul_f64_e32 v[69:70], v[65:66], v[81:82]
	v_mul_f64_e32 v[81:82], v[2:3], v[81:82]
	v_fma_f64 v[77:78], v[31:32], v[71:72], -v[99:100]
	v_fma_f64 v[57:58], v[57:58], v[71:72], v[73:74]
	s_wait_loadcnt 0x3
	v_mul_f64_e32 v[73:74], v[27:28], v[85:86]
	ds_load_2addr_b64 v[29:32], v40 offset0:8 offset1:251
	ds_load_b64 v[71:72], v34 offset:27216
	v_add_f64_e64 v[23:24], v[111:112], -v[107:108]
	s_wait_loadcnt_dscnt 0x201
	v_mul_f64_e32 v[99:100], v[29:30], v[89:90]
	v_fma_f64 v[67:68], v[25:26], v[75:76], v[67:68]
	v_mul_f64_e32 v[25:26], v[47:48], v[85:86]
	v_add_f64_e32 v[85:86], v[111:112], v[107:108]
	v_fma_f64 v[45:46], v[45:46], v[75:76], -v[109:110]
	v_mul_f64_e32 v[75:76], v[49:50], v[89:90]
	v_fma_f64 v[2:3], v[2:3], v[79:80], -v[69:70]
	v_fma_f64 v[65:66], v[65:66], v[79:80], v[81:82]
	s_wait_loadcnt 0x1
	v_mul_f64_e32 v[69:70], v[31:32], v[93:94]
	s_wait_loadcnt_dscnt 0x0
	v_mul_f64_e32 v[79:80], v[71:72], v[97:98]
	v_mul_f64_e32 v[81:82], v[103:104], v[97:98]
	v_add_f64_e32 v[89:90], v[55:56], v[101:102]
	v_and_b32_e32 v110, 0x7f, v18
	v_mul_u32_u24_e32 v109, 0x2d83, v15
	v_fma_f64 v[47:48], v[47:48], v[83:84], -v[73:74]
	v_mul_f64_e32 v[73:74], v[51:52], v[93:94]
	v_mul_u32_u24_e32 v15, 0x795d, v15
	v_add_nc_u16 v16, v110, v16
	v_lshrrev_b32_e32 v18, 19, v109
	v_mul_u32_u24_e32 v109, 0x168, v17
	v_mul_u32_u24_e32 v110, 0x168, v19
	v_lshrrev_b32_e32 v15, 22, v15
	v_lshrrev_b16 v17, 5, v16
	v_lshlrev_b32_e32 v16, 3, v20
	v_mul_lo_u16 v19, v18, 45
	s_delay_alu instid0(VALU_DEP_2) | instskip(SKIP_1) | instid1(VALU_DEP_3)
	v_add3_u32 v16, 0, v109, v16
	v_lshlrev_b32_e32 v109, 3, v21
	v_sub_nc_u16 v116, v41, v19
	v_mul_lo_u16 v19, v17, 45
	v_and_b32_e32 v17, 0xffff, v17
	v_fma_f64 v[49:50], v[49:50], v[87:88], -v[99:100]
	v_fma_f64 v[83:84], v[27:28], v[83:84], v[25:26]
	ds_load_2addr_b64 v[25:28], v34 offset1:243
	v_sub_nc_u16 v19, v62, v19
	v_mul_u32_u24_e32 v17, 0x438, v17
	v_fma_f64 v[75:76], v[29:30], v[87:88], v[75:76]
	v_add_f64_e32 v[99:100], v[8:9], v[2:3]
	v_add_f64_e32 v[87:88], v[65:66], v[53:54]
	v_fma_f64 v[51:52], v[51:52], v[91:92], -v[69:70]
	v_fma_f64 v[69:70], v[103:104], v[95:96], -v[79:80]
	v_add_f64_e32 v[79:80], v[2:3], v[105:106]
	v_fma_f64 v[71:72], v[71:72], v[95:96], v[81:82]
	v_add_f64_e32 v[81:82], v[57:58], v[67:68]
	v_add_f64_e32 v[103:104], v[10:11], v[111:112]
	v_fma_f64 v[10:11], v[85:86], -0.5, v[10:11]
	v_fma_f64 v[73:74], v[31:32], v[91:92], v[73:74]
	v_add_f64_e32 v[91:92], v[77:78], v[45:46]
	ds_load_2addr_b64 v[29:32], v35 offset0:6 offset1:249
	v_add_f64_e64 v[2:3], v[2:3], -v[105:106]
	s_wait_dscnt 0x1
	v_add_f64_e32 v[85:86], v[27:28], v[55:56]
	v_fma_f64 v[27:28], v[89:90], -0.5, v[27:28]
	v_add_f64_e64 v[55:56], v[55:56], -v[101:102]
	v_and_b32_e32 v19, 0xff, v19
	global_wb scope:SCOPE_SE
	s_wait_dscnt 0x0
	s_barrier_signal -1
	s_barrier_wait -1
	global_inv scope:SCOPE_SE
	v_add_f64_e32 v[93:94], v[49:50], v[47:48]
	v_add_f64_e32 v[89:90], v[6:7], v[49:50]
	v_add_f64_e64 v[49:50], v[49:50], -v[47:48]
	v_add_f64_e32 v[95:96], v[75:76], v[83:84]
	v_add_f64_e32 v[97:98], v[51:52], v[69:70]
	v_fma_f64 v[8:9], v[79:80], -0.5, v[8:9]
	v_add_f64_e32 v[79:80], v[25:26], v[65:66]
	v_fma_f64 v[25:26], v[87:88], -0.5, v[25:26]
	v_add_f64_e32 v[87:88], v[4:5], v[77:78]
	v_add_f64_e64 v[65:66], v[65:66], -v[53:54]
	v_add_f64_e32 v[20:21], v[63:64], v[73:74]
	v_fma_f64 v[4:5], v[91:92], -0.5, v[4:5]
	v_add_f64_e32 v[91:92], v[73:74], v[71:72]
	v_fma_f64 v[6:7], v[93:94], -0.5, v[6:7]
	;; [unrolled: 2-line block ×3, first 2 shown]
	v_add_f64_e64 v[57:58], v[57:58], -v[67:68]
	v_add_f64_e32 v[47:48], v[89:90], v[47:48]
	v_lshlrev_b32_e32 v89, 3, v113
	v_fma_f64 v[81:82], v[95:96], -0.5, v[31:32]
	v_add_f64_e32 v[95:96], v[0:1], v[51:52]
	v_add_f64_e32 v[31:32], v[31:32], v[75:76]
	v_add_f64_e64 v[75:76], v[75:76], -v[83:84]
	v_fma_f64 v[0:1], v[97:98], -0.5, v[0:1]
	v_add_f64_e64 v[97:98], v[73:74], -v[71:72]
	v_add_f64_e64 v[73:74], v[77:78], -v[45:46]
	;; [unrolled: 1-line block ×3, first 2 shown]
	v_add_f64_e32 v[77:78], v[99:100], v[105:106]
	v_add_f64_e32 v[45:46], v[87:88], v[45:46]
	v_fma_f64 v[87:88], v[65:66], s[2:3], v[8:9]
	v_add_f64_e32 v[53:54], v[79:80], v[53:54]
	v_fma_f64 v[63:64], v[91:92], -0.5, v[63:64]
	v_add_f64_e32 v[20:21], v[20:21], v[71:72]
	v_fma_f64 v[71:72], v[2:3], s[6:7], v[25:26]
	v_fma_f64 v[8:9], v[65:66], s[6:7], v[8:9]
	v_add_f64_e32 v[79:80], v[85:86], v[101:102]
	v_fma_f64 v[85:86], v[2:3], s[2:3], v[25:26]
	v_add_f64_e32 v[91:92], v[103:104], v[107:108]
	v_fma_f64 v[65:66], v[55:56], s[2:3], v[10:11]
	v_add3_u32 v33, 0, v33, v89
	v_fma_f64 v[89:90], v[23:24], s[6:7], v[27:28]
	v_fma_f64 v[10:11], v[55:56], s[6:7], v[10:11]
	v_add3_u32 v100, 0, v114, v22
	v_fma_f64 v[22:23], v[23:24], s[2:3], v[27:28]
	v_lshlrev_b32_e32 v105, 5, v19
	v_add3_u32 v99, 0, v110, v109
	v_lshlrev_b32_e32 v19, 3, v19
	v_add_f64_e32 v[67:68], v[93:94], v[67:68]
	v_fma_f64 v[55:56], v[57:58], s[2:3], v[4:5]
	v_fma_f64 v[4:5], v[57:58], s[6:7], v[4:5]
	s_delay_alu instid0(VALU_DEP_4)
	v_add3_u32 v17, 0, v17, v19
	v_add_f64_e32 v[69:70], v[95:96], v[69:70]
	v_add_f64_e32 v[83:84], v[31:32], v[83:84]
	v_fma_f64 v[57:58], v[75:76], s[2:3], v[6:7]
	v_fma_f64 v[95:96], v[49:50], s[6:7], v[81:82]
	v_fma_f64 v[6:7], v[75:76], s[6:7], v[6:7]
	v_fma_f64 v[93:94], v[73:74], s[6:7], v[29:30]
	v_fma_f64 v[73:74], v[73:74], s[2:3], v[29:30]
	v_fma_f64 v[81:82], v[49:50], s[2:3], v[81:82]
	v_fma_f64 v[75:76], v[97:98], s[2:3], v[0:1]
	v_fma_f64 v[0:1], v[97:98], s[6:7], v[0:1]
	ds_store_2addr_b64 v16, v[77:78], v[87:88] offset1:15
	ds_store_b64 v16, v[8:9] offset:240
	ds_store_2addr_b64 v99, v[91:92], v[65:66] offset1:15
	ds_store_b64 v99, v[10:11] offset:240
	;; [unrolled: 2-line block ×5, first 2 shown]
	v_fma_f64 v[97:98], v[51:52], s[6:7], v[63:64]
	v_fma_f64 v[63:64], v[51:52], s[2:3], v[63:64]
	global_wb scope:SCOPE_SE
	s_wait_dscnt 0x0
	s_barrier_signal -1
	s_barrier_wait -1
	global_inv scope:SCOPE_SE
	ds_load_2addr_b64 v[8:11], v34 offset1:243
	ds_load_2addr_b64 v[0:3], v36 offset0:12 offset1:255
	ds_load_2addr_b64 v[25:28], v37 offset0:6 offset1:249
	;; [unrolled: 1-line block ×6, first 2 shown]
	ds_load_b64 v[103:104], v34 offset:27216
	global_wb scope:SCOPE_SE
	s_wait_dscnt 0x0
	s_barrier_signal -1
	s_barrier_wait -1
	global_inv scope:SCOPE_SE
	ds_store_2addr_b64 v16, v[53:54], v[71:72] offset1:15
	ds_store_b64 v16, v[85:86] offset:240
	ds_store_2addr_b64 v99, v[79:80], v[89:90] offset1:15
	ds_store_b64 v99, v[22:23] offset:240
	;; [unrolled: 2-line block ×5, first 2 shown]
	global_wb scope:SCOPE_SE
	s_wait_dscnt 0x0
	s_barrier_signal -1
	s_barrier_wait -1
	global_inv scope:SCOPE_SE
	global_load_b128 v[53:56], v105, s[4:5] offset:656
	v_and_b32_e32 v20, 0xffff, v116
	v_mul_u32_u24_e32 v21, 0x2d83, v14
	v_mul_u32_u24_e32 v23, 0x2d83, v12
	v_mul_u32_u24_e32 v33, 0x2d83, v13
	v_mul_u32_u24_e32 v116, 0x438, v18
	v_lshlrev_b32_e32 v16, 5, v20
	v_lshrrev_b32_e32 v22, 19, v21
	v_lshrrev_b32_e32 v24, 19, v23
	;; [unrolled: 1-line block ×3, first 2 shown]
	v_lshlrev_b32_e32 v117, 3, v20
	s_clause 0x1
	global_load_b128 v[63:66], v16, s[4:5] offset:656
	global_load_b128 v[67:70], v16, s[4:5] offset:640
	v_mul_lo_u16 v21, v22, 45
	v_mul_lo_u16 v23, v24, 45
	;; [unrolled: 1-line block ×3, first 2 shown]
	v_mul_u32_u24_e32 v59, 0x438, v59
	v_mul_u32_u24_e32 v22, 0x438, v22
	v_sub_nc_u16 v21, v43, v21
	v_sub_nc_u16 v23, v44, v23
	v_sub_nc_u16 v33, v42, v33
	v_mul_u32_u24_e32 v24, 0x438, v24
	v_mul_u32_u24_e32 v14, 0x795d, v14
	v_and_b32_e32 v21, 0xffff, v21
	v_and_b32_e32 v23, 0xffff, v23
	;; [unrolled: 1-line block ×3, first 2 shown]
	s_delay_alu instid0(VALU_DEP_3)
	v_lshlrev_b32_e32 v16, 5, v21
	v_lshlrev_b32_e32 v118, 3, v21
	s_clause 0x1
	global_load_b128 v[71:74], v16, s[4:5] offset:640
	global_load_b128 v[75:78], v16, s[4:5] offset:656
	v_lshlrev_b32_e32 v16, 5, v23
	s_clause 0x2
	global_load_b128 v[79:82], v16, s[4:5] offset:656
	global_load_b128 v[83:86], v105, s[4:5] offset:640
	;; [unrolled: 1-line block ×3, first 2 shown]
	v_lshlrev_b32_e32 v16, 5, v115
	s_clause 0x1
	global_load_b128 v[91:94], v16, s[4:5] offset:640
	global_load_b128 v[95:98], v16, s[4:5] offset:656
	ds_load_2addr_b64 v[99:102], v37 offset0:6 offset1:249
	v_add_nc_u32_e32 v16, 0xffffff79, v62
	v_lshlrev_b32_e32 v23, 3, v23
	s_wait_alu 0xf1ff
	s_delay_alu instid0(VALU_DEP_2)
	v_cndmask_b32_e64 v16, v16, v62, s0
	s_wait_loadcnt_dscnt 0x900
	v_mul_f64_e32 v[105:106], v[99:100], v[55:56]
	v_mul_f64_e32 v[107:108], v[25:26], v[55:56]
	ds_load_2addr_b64 v[55:58], v38 offset0:2 offset1:245
	s_wait_loadcnt 0x8
	v_mul_f64_e32 v[109:110], v[101:102], v[65:66]
	v_mul_f64_e32 v[65:66], v[27:28], v[65:66]
	s_wait_loadcnt_dscnt 0x700
	v_mul_f64_e32 v[111:112], v[55:56], v[69:70]
	v_mul_f64_e32 v[69:70], v[29:30], v[69:70]
	v_fma_f64 v[105:106], v[25:26], v[53:54], -v[105:106]
	v_fma_f64 v[53:54], v[99:100], v[53:54], v[107:108]
	s_wait_loadcnt 0x6
	v_mul_f64_e32 v[99:100], v[57:58], v[73:74]
	v_mul_f64_e32 v[73:74], v[31:32], v[73:74]
	v_fma_f64 v[107:108], v[27:28], v[63:64], -v[109:110]
	ds_load_2addr_b64 v[25:28], v39 offset0:4 offset1:247
	v_fma_f64 v[101:102], v[101:102], v[63:64], v[65:66]
	ds_load_2addr_b64 v[63:66], v36 offset0:12 offset1:255
	v_fma_f64 v[111:112], v[29:30], v[67:68], -v[111:112]
	v_fma_f64 v[55:56], v[55:56], v[67:68], v[69:70]
	s_wait_loadcnt 0x5
	v_mul_f64_e32 v[67:68], v[45:46], v[77:78]
	s_wait_dscnt 0x1
	v_mul_f64_e32 v[109:110], v[25:26], v[77:78]
	s_wait_loadcnt 0x4
	v_mul_f64_e32 v[69:70], v[27:28], v[81:82]
	v_fma_f64 v[77:78], v[31:32], v[71:72], -v[99:100]
	s_wait_loadcnt_dscnt 0x300
	v_mul_f64_e32 v[99:100], v[65:66], v[85:86]
	v_mul_f64_e32 v[85:86], v[2:3], v[85:86]
	v_fma_f64 v[57:58], v[57:58], v[71:72], v[73:74]
	ds_load_2addr_b64 v[29:32], v40 offset0:8 offset1:251
	ds_load_b64 v[71:72], v34 offset:27216
	v_add_f64_e64 v[20:21], v[111:112], -v[107:108]
	v_fma_f64 v[67:68], v[25:26], v[75:76], v[67:68]
	s_wait_loadcnt_dscnt 0x201
	v_mul_f64_e32 v[73:74], v[29:30], v[89:90]
	v_mul_f64_e32 v[25:26], v[47:48], v[81:82]
	s_wait_loadcnt_dscnt 0x0
	v_mul_f64_e32 v[81:82], v[71:72], v[97:98]
	v_fma_f64 v[45:46], v[45:46], v[75:76], -v[109:110]
	v_mul_f64_e32 v[75:76], v[49:50], v[89:90]
	v_fma_f64 v[47:48], v[47:48], v[79:80], -v[69:70]
	v_mul_f64_e32 v[69:70], v[31:32], v[93:94]
	v_add_f64_e32 v[109:110], v[10:11], v[111:112]
	v_fma_f64 v[2:3], v[2:3], v[83:84], -v[99:100]
	v_fma_f64 v[65:66], v[65:66], v[83:84], v[85:86]
	v_mul_f64_e32 v[83:84], v[51:52], v[93:94]
	v_mul_f64_e32 v[85:86], v[103:104], v[97:98]
	v_add_f64_e32 v[93:94], v[57:58], v[67:68]
	v_fma_f64 v[49:50], v[49:50], v[87:88], -v[73:74]
	v_fma_f64 v[73:74], v[27:28], v[79:80], v[25:26]
	ds_load_2addr_b64 v[25:28], v34 offset1:243
	v_add_f64_e32 v[89:90], v[77:78], v[45:46]
	v_fma_f64 v[75:76], v[29:30], v[87:88], v[75:76]
	v_add_f64_e32 v[87:88], v[55:56], v[101:102]
	v_fma_f64 v[51:52], v[51:52], v[91:92], -v[69:70]
	v_fma_f64 v[69:70], v[103:104], v[95:96], -v[81:82]
	v_add_f64_e32 v[81:82], v[2:3], v[105:106]
	v_add_f64_e32 v[103:104], v[8:9], v[2:3]
	v_fma_f64 v[79:80], v[31:32], v[91:92], v[83:84]
	v_fma_f64 v[71:72], v[71:72], v[95:96], v[85:86]
	v_add_f64_e32 v[85:86], v[65:66], v[53:54]
	v_add_f64_e32 v[83:84], v[111:112], v[107:108]
	ds_load_2addr_b64 v[29:32], v35 offset0:6 offset1:249
	v_add_f64_e64 v[2:3], v[2:3], -v[105:106]
	global_wb scope:SCOPE_SE
	s_wait_dscnt 0x0
	s_barrier_signal -1
	s_barrier_wait -1
	global_inv scope:SCOPE_SE
	v_add_nc_u32_e32 v111, 0xffffff5e, v62
	v_add_f64_e32 v[91:92], v[49:50], v[47:48]
	v_add_f64_e32 v[113:114], v[6:7], v[49:50]
	v_add_f64_e64 v[49:50], v[49:50], -v[47:48]
	v_fma_f64 v[93:94], v[93:94], -0.5, v[29:30]
	v_add_f64_e32 v[95:96], v[75:76], v[73:74]
	v_add_f64_e32 v[97:98], v[51:52], v[69:70]
	v_fma_f64 v[8:9], v[81:82], -0.5, v[8:9]
	v_add_f64_e32 v[81:82], v[25:26], v[65:66]
	v_add_f64_e64 v[65:66], v[65:66], -v[53:54]
	v_add_f64_e32 v[99:100], v[79:80], v[71:72]
	v_fma_f64 v[25:26], v[85:86], -0.5, v[25:26]
	v_fma_f64 v[85:86], v[87:88], -0.5, v[27:28]
	v_add_f64_e32 v[87:88], v[4:5], v[77:78]
	v_fma_f64 v[4:5], v[89:90], -0.5, v[4:5]
	v_add_f64_e32 v[89:90], v[29:30], v[57:58]
	;; [unrolled: 2-line block ×3, first 2 shown]
	v_add_f64_e64 v[55:56], v[55:56], -v[101:102]
	v_add_f64_e64 v[57:58], v[57:58], -v[67:68]
	v_add_f64_e64 v[77:78], v[77:78], -v[45:46]
	v_dual_mov_b32 v29, 0 :: v_dual_lshlrev_b32 v28, 1, v16
	s_delay_alu instid0(VALU_DEP_1)
	v_lshlrev_b64_e32 v[27:28], 4, v[28:29]
	v_fma_f64 v[6:7], v[91:92], -0.5, v[6:7]
	v_add_f64_e32 v[91:92], v[31:32], v[75:76]
	v_add_f64_e64 v[75:76], v[75:76], -v[73:74]
	v_add_f64_e32 v[47:48], v[113:114], v[47:48]
	v_add_co_u32 v27, s0, s4, v27
	s_wait_alu 0xf1ff
	v_add_co_ci_u32_e64 v28, s0, s5, v28, s0
	v_fma_f64 v[30:31], v[95:96], -0.5, v[31:32]
	v_add_f64_e32 v[32:33], v[0:1], v[51:52]
	v_add_f64_e64 v[95:96], v[79:80], -v[71:72]
	v_add_f64_e32 v[79:80], v[63:64], v[79:80]
	v_fma_f64 v[0:1], v[97:98], -0.5, v[0:1]
	v_add_f64_e64 v[51:52], v[51:52], -v[69:70]
	v_mul_lo_u16 v97, 0x87, v15
	v_cmp_lt_u32_e64 s0, 0x86, v62
	v_add_f64_e32 v[53:54], v[81:82], v[53:54]
	v_fma_f64 v[63:64], v[99:100], -0.5, v[63:64]
	s_delay_alu instid0(VALU_DEP_4)
	v_sub_nc_u16 v18, v41, v97
	v_add_f64_e32 v[97:98], v[103:104], v[105:106]
	v_add_f64_e32 v[45:46], v[87:88], v[45:46]
	v_lshlrev_b32_e32 v87, 3, v115
	v_add_f64_e32 v[99:100], v[109:110], v[107:108]
	v_add_f64_e32 v[67:68], v[89:90], v[67:68]
	;; [unrolled: 1-line block ×3, first 2 shown]
	v_fma_f64 v[83:84], v[2:3], s[2:3], v[25:26]
	v_add3_u32 v59, 0, v59, v87
	v_fma_f64 v[87:88], v[20:21], s[6:7], v[85:86]
	v_fma_f64 v[85:86], v[20:21], s[2:3], v[85:86]
	;; [unrolled: 1-line block ×4, first 2 shown]
	v_add3_u32 v103, 0, v24, v23
	v_and_b32_e32 v18, 0xffff, v18
	v_add_f64_e32 v[73:74], v[91:92], v[73:74]
	v_fma_f64 v[91:92], v[49:50], s[6:7], v[30:31]
	v_add_f64_e32 v[32:33], v[32:33], v[69:70]
	v_fma_f64 v[69:70], v[65:66], s[2:3], v[8:9]
	;; [unrolled: 2-line block ×3, first 2 shown]
	v_fma_f64 v[8:9], v[65:66], s[6:7], v[8:9]
	v_fma_f64 v[65:66], v[55:56], s[2:3], v[10:11]
	;; [unrolled: 1-line block ×12, first 2 shown]
	v_add3_u32 v95, 0, v116, v117
	v_add3_u32 v96, 0, v22, v118
	ds_store_2addr_b64 v17, v[97:98], v[69:70] offset1:45
	ds_store_b64 v17, v[8:9] offset:720
	ds_store_2addr_b64 v95, v[99:100], v[65:66] offset1:45
	ds_store_b64 v95, v[10:11] offset:720
	;; [unrolled: 2-line block ×5, first 2 shown]
	global_wb scope:SCOPE_SE
	s_wait_dscnt 0x0
	s_barrier_signal -1
	s_barrier_wait -1
	global_inv scope:SCOPE_SE
	ds_load_2addr_b64 v[8:11], v34 offset1:243
	ds_load_2addr_b64 v[0:3], v36 offset0:12 offset1:255
	ds_load_2addr_b64 v[19:22], v37 offset0:6 offset1:249
	;; [unrolled: 1-line block ×6, first 2 shown]
	ds_load_b64 v[57:58], v34 offset:27216
	global_wb scope:SCOPE_SE
	s_wait_dscnt 0x0
	s_barrier_signal -1
	s_barrier_wait -1
	global_inv scope:SCOPE_SE
	ds_store_2addr_b64 v17, v[53:54], v[79:80] offset1:45
	ds_store_b64 v17, v[83:84] offset:720
	ds_store_2addr_b64 v95, v[81:82], v[87:88] offset1:45
	ds_store_b64 v95, v[85:86] offset:720
	;; [unrolled: 2-line block ×5, first 2 shown]
	global_wb scope:SCOPE_SE
	s_wait_dscnt 0x0
	s_barrier_signal -1
	s_barrier_wait -1
	global_inv scope:SCOPE_SE
	global_load_b128 v[49:52], v[27:28], off offset:2096
	v_lshrrev_b32_e32 v17, 22, v14
	v_lshlrev_b32_e32 v59, 5, v18
	v_mul_u32_u24_e32 v71, 0x795d, v12
	v_mul_u32_u24_e32 v72, 0x795d, v13
	v_lshlrev_b32_e32 v18, 3, v18
	v_mul_lo_u16 v14, 0x87, v17
	s_clause 0x1
	global_load_b128 v[53:56], v59, s[4:5] offset:2096
	global_load_b128 v[63:66], v59, s[4:5] offset:2080
	v_lshrrev_b32_e32 v113, 22, v71
	v_lshrrev_b32_e32 v114, 22, v72
	v_sub_nc_u16 v14, v43, v14
	v_mul_u32_u24_e32 v117, 0xca8, v17
	s_delay_alu instid0(VALU_DEP_4) | instskip(NEXT) | instid1(VALU_DEP_4)
	v_mul_lo_u16 v71, 0x87, v113
	v_mul_lo_u16 v72, 0x87, v114
	s_delay_alu instid0(VALU_DEP_4)
	v_and_b32_e32 v14, 0xffff, v14
	v_mul_u32_u24_e32 v113, 0xca8, v113
	v_mul_u32_u24_e32 v114, 0xca8, v114
	v_sub_nc_u16 v71, v44, v71
	v_sub_nc_u16 v72, v42, v72
	v_lshlrev_b32_e32 v59, 5, v14
	v_lshlrev_b32_e32 v118, 3, v14
	s_delay_alu instid0(VALU_DEP_4) | instskip(NEXT) | instid1(VALU_DEP_4)
	v_and_b32_e32 v115, 0xffff, v71
	v_and_b32_e32 v116, 0xffff, v72
	global_load_b128 v[67:70], v59, s[4:5] offset:2080
	v_lshlrev_b32_e32 v79, 5, v115
	v_lshlrev_b32_e32 v91, 5, v116
	s_clause 0x5
	global_load_b128 v[71:74], v59, s[4:5] offset:2096
	global_load_b128 v[75:78], v79, s[4:5] offset:2096
	;; [unrolled: 1-line block ×4, first 2 shown]
	global_load_b128 v[87:90], v[27:28], off offset:2080
	global_load_b128 v[91:94], v91, s[4:5] offset:2096
	ds_load_2addr_b64 v[95:98], v37 offset0:6 offset1:249
	ds_load_2addr_b64 v[99:102], v38 offset0:2 offset1:245
	s_wait_alu 0xf1ff
	v_cndmask_b32_e64 v59, 0, 0xca8, s0
	v_cmp_gt_u32_e64 s0, 0xa2, v62
	v_lshlrev_b32_e32 v115, 3, v115
	s_wait_loadcnt_dscnt 0x901
	v_mul_f64_e32 v[27:28], v[95:96], v[51:52]
	v_mul_f64_e32 v[51:52], v[19:20], v[51:52]
	s_wait_loadcnt 0x8
	v_mul_f64_e32 v[103:104], v[97:98], v[55:56]
	v_mul_f64_e32 v[55:56], v[21:22], v[55:56]
	s_wait_loadcnt_dscnt 0x700
	v_mul_f64_e32 v[105:106], v[99:100], v[65:66]
	v_mul_f64_e32 v[65:66], v[23:24], v[65:66]
	v_fma_f64 v[107:108], v[19:20], v[49:50], -v[27:28]
	s_wait_loadcnt 0x6
	v_mul_f64_e32 v[27:28], v[101:102], v[69:70]
	v_fma_f64 v[95:96], v[95:96], v[49:50], v[51:52]
	ds_load_2addr_b64 v[49:52], v40 offset0:8 offset1:251
	v_fma_f64 v[103:104], v[21:22], v[53:54], -v[103:104]
	v_fma_f64 v[53:54], v[97:98], v[53:54], v[55:56]
	v_mul_f64_e32 v[55:56], v[25:26], v[69:70]
	ds_load_2addr_b64 v[19:22], v39 offset0:4 offset1:247
	v_fma_f64 v[105:106], v[23:24], v[63:64], -v[105:106]
	v_fma_f64 v[63:64], v[99:100], v[63:64], v[65:66]
	s_wait_loadcnt_dscnt 0x301
	v_mul_f64_e32 v[65:66], v[49:50], v[81:82]
	s_wait_loadcnt 0x2
	v_mul_f64_e32 v[99:100], v[51:52], v[85:86]
	s_wait_dscnt 0x0
	v_mul_f64_e32 v[69:70], v[19:20], v[73:74]
	v_mul_f64_e32 v[97:98], v[21:22], v[77:78]
	;; [unrolled: 1-line block ×3, first 2 shown]
	v_fma_f64 v[109:110], v[25:26], v[67:68], -v[27:28]
	ds_load_2addr_b64 v[23:26], v36 offset0:12 offset1:255
	ds_load_b64 v[27:28], v34 offset:27216
	v_fma_f64 v[55:56], v[101:102], v[67:68], v[55:56]
	s_wait_loadcnt_dscnt 0x101
	v_mul_f64_e32 v[67:68], v[25:26], v[89:90]
	v_mul_f64_e32 v[89:90], v[2:3], v[89:90]
	v_fma_f64 v[69:70], v[30:31], v[71:72], -v[69:70]
	v_mul_f64_e32 v[30:31], v[32:33], v[77:78]
	s_wait_loadcnt_dscnt 0x0
	v_mul_f64_e32 v[77:78], v[27:28], v[93:94]
	v_fma_f64 v[97:98], v[32:33], v[75:76], -v[97:98]
	v_mul_f64_e32 v[32:33], v[45:46], v[81:82]
	v_fma_f64 v[45:46], v[45:46], v[79:80], -v[65:66]
	v_fma_f64 v[65:66], v[47:48], v[83:84], -v[99:100]
	v_mul_f64_e32 v[47:48], v[47:48], v[85:86]
	v_fma_f64 v[71:72], v[19:20], v[71:72], v[73:74]
	v_add_f64_e32 v[81:82], v[63:64], v[53:54]
	v_fma_f64 v[2:3], v[2:3], v[87:88], -v[67:68]
	v_mul_f64_e32 v[67:68], v[57:58], v[93:94]
	v_fma_f64 v[25:26], v[25:26], v[87:88], v[89:90]
	v_fma_f64 v[73:74], v[21:22], v[75:76], v[30:31]
	v_fma_f64 v[57:58], v[57:58], v[91:92], -v[77:78]
	v_add_f64_e32 v[77:78], v[105:106], v[103:104]
	v_fma_f64 v[49:50], v[49:50], v[79:80], v[32:33]
	ds_load_2addr_b64 v[19:22], v34 offset1:243
	ds_load_2addr_b64 v[30:33], v35 offset0:6 offset1:249
	v_fma_f64 v[47:48], v[51:52], v[83:84], v[47:48]
	v_add_f64_e32 v[85:86], v[55:56], v[71:72]
	v_add_f64_e32 v[99:100], v[0:1], v[65:66]
	global_wb scope:SCOPE_SE
	s_wait_dscnt 0x0
	s_barrier_signal -1
	s_barrier_wait -1
	global_inv scope:SCOPE_SE
	v_add_f64_e32 v[75:76], v[2:3], v[107:108]
	v_fma_f64 v[51:52], v[27:28], v[91:92], v[67:68]
	v_add_f64_e32 v[79:80], v[25:26], v[95:96]
	v_add_f64_e32 v[67:68], v[45:46], v[97:98]
	;; [unrolled: 1-line block ×6, first 2 shown]
	v_add_f64_e64 v[25:26], v[25:26], -v[95:96]
	v_add_f64_e32 v[83:84], v[65:66], v[57:58]
	v_fma_f64 v[10:11], v[77:78], -0.5, v[10:11]
	v_add_f64_e32 v[87:88], v[49:50], v[73:74]
	v_add_f64_e64 v[101:102], v[49:50], -v[73:74]
	v_add_f64_e32 v[49:50], v[32:33], v[49:50]
	v_add_f64_e64 v[65:66], v[65:66], -v[57:58]
	v_fma_f64 v[85:86], v[85:86], -0.5, v[30:31]
	v_add_f64_e32 v[57:58], v[99:100], v[57:58]
	v_fma_f64 v[8:9], v[75:76], -0.5, v[8:9]
	v_add_f64_e32 v[77:78], v[47:48], v[51:52]
	v_add_f64_e32 v[75:76], v[4:5], v[109:110]
	v_fma_f64 v[19:20], v[79:80], -0.5, v[19:20]
	v_fma_f64 v[67:68], v[67:68], -0.5, v[6:7]
	v_add_f64_e32 v[6:7], v[6:7], v[45:46]
	v_fma_f64 v[79:80], v[81:82], -0.5, v[21:22]
	v_add_f64_e32 v[21:22], v[21:22], v[63:64]
	v_add_f64_e64 v[63:64], v[63:64], -v[53:54]
	v_fma_f64 v[4:5], v[27:28], -0.5, v[4:5]
	v_fma_f64 v[83:84], v[83:84], -0.5, v[0:1]
	v_lshlrev_b32_e32 v1, 3, v16
	v_add_f64_e64 v[16:17], v[105:106], -v[103:104]
	v_add_f64_e64 v[81:82], v[55:56], -v[71:72]
	s_wait_alu 0xf1ff
	v_cndmask_b32_e64 v0, v111, v41, s0
	v_add_f64_e64 v[111:112], v[47:48], -v[51:52]
	v_add3_u32 v59, 0, v59, v1
	v_add_f64_e64 v[1:2], v[2:3], -v[107:108]
	v_add_f64_e32 v[55:56], v[30:31], v[55:56]
	v_mul_u32_u24_e32 v27, 0xca8, v15
	v_add_f64_e32 v[14:15], v[23:24], v[47:48]
	v_add_f64_e64 v[47:48], v[109:110], -v[69:70]
	v_fma_f64 v[32:33], v[87:88], -0.5, v[32:33]
	v_add_f64_e64 v[45:46], v[45:46], -v[97:98]
	v_add_f64_e32 v[93:94], v[93:94], v[95:96]
	v_lshlrev_b32_e32 v28, 1, v62
	v_dual_mov_b32 v88, v29 :: v_dual_lshlrev_b32 v87, 1, v0
	v_add3_u32 v109, 0, v113, v115
	s_delay_alu instid0(VALU_DEP_3) | instskip(SKIP_1) | instid1(VALU_DEP_2)
	v_lshlrev_b64_e32 v[30:31], 4, v[28:29]
	v_add_nc_u32_e32 v28, 0xa2, v28
	v_add_co_u32 v30, s0, s4, v30
	s_wait_alu 0xf1ff
	s_delay_alu instid0(VALU_DEP_3)
	v_add_co_ci_u32_e64 v31, s0, s5, v31, s0
	v_fma_f64 v[23:24], v[77:78], -0.5, v[23:24]
	v_add_f64_e32 v[77:78], v[89:90], v[107:108]
	v_add_f64_e32 v[69:70], v[75:76], v[69:70]
	v_fma_f64 v[75:76], v[25:26], s[2:3], v[8:9]
	v_add_f64_e32 v[6:7], v[6:7], v[97:98]
	v_fma_f64 v[8:9], v[25:26], s[6:7], v[8:9]
	;; [unrolled: 2-line block ×4, first 2 shown]
	v_fma_f64 v[99:100], v[16:17], s[6:7], v[79:80]
	v_fma_f64 v[79:80], v[16:17], s[2:3], v[79:80]
	;; [unrolled: 1-line block ×8, first 2 shown]
	v_add_f64_e32 v[55:56], v[55:56], v[71:72]
	v_fma_f64 v[101:102], v[47:48], s[6:7], v[85:86]
	v_fma_f64 v[85:86], v[47:48], s[2:3], v[85:86]
	v_add_f64_e32 v[71:72], v[49:50], v[73:74]
	v_fma_f64 v[103:104], v[45:46], s[6:7], v[32:33]
	v_fma_f64 v[32:33], v[45:46], s[2:3], v[32:33]
	;; [unrolled: 1-line block ×3, first 2 shown]
	v_add_f64_e32 v[73:74], v[14:15], v[51:52]
	v_fma_f64 v[83:84], v[111:112], s[6:7], v[83:84]
	v_lshlrev_b32_e32 v5, 3, v116
	v_add3_u32 v107, 0, v27, v18
	v_add3_u32 v108, 0, v117, v118
	v_lshlrev_b32_e32 v112, 3, v0
	s_delay_alu instid0(VALU_DEP_4)
	v_add3_u32 v110, 0, v114, v5
	ds_store_2addr_b64 v59, v[77:78], v[75:76] offset1:135
	ds_store_b64 v59, v[8:9] offset:2160
	ds_store_2addr_b64 v107, v[89:90], v[25:26] offset1:135
	ds_store_b64 v107, v[10:11] offset:2160
	ds_store_2addr_b64 v108, v[69:70], v[63:64] offset1:135
	ds_store_b64 v108, v[3:4] offset:2160
	ds_store_2addr_b64 v109, v[6:7], v[81:82] offset1:135
	ds_store_b64 v109, v[67:68] offset:2160
	ds_store_2addr_b64 v110, v[57:58], v[91:92] offset1:135
	ds_store_b64 v110, v[83:84] offset:2160
	v_fma_f64 v[105:106], v[65:66], s[6:7], v[23:24]
	v_fma_f64 v[65:66], v[65:66], s[2:3], v[23:24]
	global_wb scope:SCOPE_SE
	s_wait_dscnt 0x0
	s_barrier_signal -1
	s_barrier_wait -1
	global_inv scope:SCOPE_SE
	ds_load_2addr_b64 v[1:4], v34 offset1:243
	ds_load_2addr_b64 v[5:8], v36 offset0:12 offset1:255
	ds_load_2addr_b64 v[14:17], v37 offset0:6 offset1:249
	;; [unrolled: 1-line block ×6, first 2 shown]
	ds_load_b64 v[26:27], v34 offset:27216
	global_wb scope:SCOPE_SE
	s_wait_dscnt 0x0
	s_barrier_signal -1
	s_barrier_wait -1
	global_inv scope:SCOPE_SE
	ds_store_2addr_b64 v59, v[93:94], v[95:96] offset1:135
	ds_store_b64 v59, v[97:98] offset:2160
	ds_store_2addr_b64 v107, v[53:54], v[99:100] offset1:135
	ds_store_b64 v107, v[79:80] offset:2160
	ds_store_2addr_b64 v108, v[55:56], v[101:102] offset1:135
	ds_store_b64 v108, v[85:86] offset:2160
	ds_store_2addr_b64 v109, v[71:72], v[103:104] offset1:135
	ds_store_b64 v109, v[32:33] offset:2160
	ds_store_2addr_b64 v110, v[73:74], v[105:106] offset1:135
	ds_store_b64 v110, v[65:66] offset:2160
	global_wb scope:SCOPE_SE
	s_wait_dscnt 0x0
	s_barrier_signal -1
	s_barrier_wait -1
	global_inv scope:SCOPE_SE
	global_load_b128 v[53:56], v[30:31], off offset:6416
	v_lshlrev_b64_e32 v[9:10], 4, v[87:88]
	v_mul_u32_u24_e32 v11, 0x43a3, v12
	v_mul_u32_u24_e32 v12, 0x43a3, v13
	global_load_b128 v[67:70], v[30:31], off offset:6400
	v_add_co_u32 v9, s0, s4, v9
	s_wait_alu 0xf1ff
	v_add_co_ci_u32_e64 v10, s0, s5, v10, s0
	v_lshrrev_b32_e32 v13, 16, v11
	v_lshrrev_b32_e32 v32, 16, v12
	s_clause 0x1
	global_load_b128 v[63:66], v[9:10], off offset:6416
	global_load_b128 v[9:12], v[9:10], off offset:6400
	v_sub_nc_u16 v33, v44, v13
	v_sub_nc_u16 v57, v42, v32
	s_delay_alu instid0(VALU_DEP_2) | instskip(NEXT) | instid1(VALU_DEP_2)
	v_lshrrev_b16 v33, 1, v33
	v_lshrrev_b16 v57, 1, v57
	s_delay_alu instid0(VALU_DEP_2) | instskip(NEXT) | instid1(VALU_DEP_2)
	v_add_nc_u16 v13, v33, v13
	v_add_nc_u16 v32, v57, v32
	s_delay_alu instid0(VALU_DEP_2) | instskip(NEXT) | instid1(VALU_DEP_2)
	v_lshrrev_b16 v59, 8, v13
	v_lshrrev_b16 v13, 8, v32
	s_delay_alu instid0(VALU_DEP_2) | instskip(NEXT) | instid1(VALU_DEP_2)
	v_mul_lo_u16 v32, 0x195, v59
	v_mul_lo_u16 v13, 0x195, v13
	s_delay_alu instid0(VALU_DEP_2) | instskip(SKIP_1) | instid1(VALU_DEP_3)
	v_sub_nc_u16 v57, v44, v32
	v_lshlrev_b64_e32 v[32:33], 4, v[28:29]
	v_sub_nc_u16 v13, v42, v13
	s_delay_alu instid0(VALU_DEP_3) | instskip(NEXT) | instid1(VALU_DEP_3)
	v_and_b32_e32 v28, 0xffff, v57
	v_add_co_u32 v32, s0, s4, v32
	s_wait_alu 0xf1ff
	s_delay_alu instid0(VALU_DEP_4)
	v_add_co_ci_u32_e64 v33, s0, s5, v33, s0
	v_and_b32_e32 v111, 0xffff, v13
	v_lshlrev_b32_e32 v13, 5, v28
	s_clause 0x1
	global_load_b128 v[71:74], v[32:33], off offset:6400
	global_load_b128 v[75:78], v[32:33], off offset:6416
	v_cmp_lt_u32_e64 s0, 0xa1, v62
	v_lshlrev_b32_e32 v32, 5, v111
	s_clause 0x3
	global_load_b128 v[79:82], v13, s[4:5] offset:6416
	global_load_b128 v[83:86], v13, s[4:5] offset:6400
	;; [unrolled: 1-line block ×4, first 2 shown]
	ds_load_2addr_b64 v[95:98], v37 offset0:6 offset1:249
	ds_load_2addr_b64 v[99:102], v36 offset0:12 offset1:255
	v_lshlrev_b32_e32 v28, 3, v28
	s_wait_loadcnt_dscnt 0x901
	v_mul_f64_e32 v[32:33], v[95:96], v[55:56]
	v_mul_f64_e32 v[103:104], v[14:15], v[55:56]
	ds_load_2addr_b64 v[55:58], v38 offset0:2 offset1:245
	s_wait_loadcnt 0x7
	v_mul_f64_e32 v[105:106], v[97:98], v[65:66]
	v_mul_f64_e32 v[65:66], v[16:17], v[65:66]
	s_wait_loadcnt 0x6
	v_mul_f64_e32 v[109:110], v[18:19], v[11:12]
	s_wait_dscnt 0x0
	v_mul_f64_e32 v[107:108], v[55:56], v[11:12]
	v_fma_f64 v[32:33], v[14:15], v[53:54], -v[32:33]
	v_fma_f64 v[53:54], v[95:96], v[53:54], v[103:104]
	v_mul_f64_e32 v[95:96], v[101:102], v[69:70]
	v_mul_f64_e32 v[69:70], v[7:8], v[69:70]
	ds_load_2addr_b64 v[11:14], v39 offset0:4 offset1:247
	v_fma_f64 v[15:16], v[16:17], v[63:64], -v[105:106]
	v_fma_f64 v[97:98], v[97:98], v[63:64], v[65:66]
	ds_load_2addr_b64 v[63:66], v40 offset0:8 offset1:251
	s_wait_loadcnt 0x5
	v_mul_f64_e32 v[103:104], v[57:58], v[73:74]
	v_fma_f64 v[55:56], v[55:56], v[9:10], v[109:110]
	v_fma_f64 v[17:18], v[18:19], v[9:10], -v[107:108]
	s_wait_loadcnt_dscnt 0x301
	v_mul_f64_e32 v[9:10], v[13:14], v[81:82]
	v_mul_f64_e32 v[105:106], v[11:12], v[77:78]
	s_wait_loadcnt_dscnt 0x200
	v_mul_f64_e32 v[107:108], v[63:64], v[85:86]
	v_fma_f64 v[95:96], v[7:8], v[67:68], -v[95:96]
	s_wait_loadcnt 0x1
	v_mul_f64_e32 v[7:8], v[65:66], v[89:90]
	v_fma_f64 v[67:68], v[101:102], v[67:68], v[69:70]
	ds_load_b64 v[69:70], v34 offset:27216
	v_fma_f64 v[101:102], v[20:21], v[71:72], -v[103:104]
	v_mul_f64_e32 v[19:20], v[20:21], v[73:74]
	v_mul_f64_e32 v[73:74], v[45:46], v[77:78]
	v_fma_f64 v[77:78], v[47:48], v[79:80], -v[9:10]
	v_mul_f64_e32 v[9:10], v[47:48], v[81:82]
	v_mul_f64_e32 v[47:48], v[49:50], v[85:86]
	v_fma_f64 v[45:46], v[45:46], v[75:76], -v[105:106]
	v_add_f64_e32 v[85:86], v[55:56], v[97:98]
	v_add_f64_e64 v[105:106], v[55:56], -v[97:98]
	v_fma_f64 v[49:50], v[49:50], v[83:84], -v[107:108]
	v_fma_f64 v[81:82], v[51:52], v[87:88], -v[7:8]
	v_mul_f64_e32 v[7:8], v[51:52], v[89:90]
	s_wait_loadcnt_dscnt 0x0
	v_mul_f64_e32 v[51:52], v[69:70], v[93:94]
	v_add_f64_e64 v[103:104], v[67:68], -v[53:54]
	v_fma_f64 v[19:20], v[57:58], v[71:72], v[19:20]
	v_fma_f64 v[57:58], v[11:12], v[75:76], v[73:74]
	;; [unrolled: 1-line block ×4, first 2 shown]
	v_add_f64_e32 v[73:74], v[101:102], v[45:46]
	v_add_f64_e32 v[83:84], v[67:68], v[53:54]
	ds_load_2addr_b64 v[11:14], v35 offset0:6 offset1:249
	v_add_f64_e32 v[75:76], v[49:50], v[77:78]
	v_add_f64_e32 v[109:110], v[5:6], v[81:82]
	v_fma_f64 v[63:64], v[65:66], v[87:88], v[7:8]
	v_fma_f64 v[51:52], v[26:27], v[91:92], -v[51:52]
	v_mul_f64_e32 v[26:27], v[26:27], v[93:94]
	v_add_f64_e32 v[65:66], v[95:96], v[32:33]
	v_add_f64_e32 v[93:94], v[1:2], v[95:96]
	ds_load_2addr_b64 v[7:10], v34 offset1:243
	v_add_f64_e64 v[95:96], v[95:96], -v[32:33]
	global_wb scope:SCOPE_SE
	s_wait_dscnt 0x0
	s_barrier_signal -1
	s_barrier_wait -1
	global_inv scope:SCOPE_SE
	v_add_f64_e32 v[87:88], v[19:20], v[57:58]
	v_add_f64_e64 v[107:108], v[19:20], -v[57:58]
	v_add_f64_e32 v[19:20], v[11:12], v[19:20]
	v_add_f64_e32 v[89:90], v[47:48], v[71:72]
	;; [unrolled: 1-line block ×3, first 2 shown]
	v_fma_f64 v[7:8], v[83:84], -0.5, v[7:8]
	v_add_f64_e32 v[55:56], v[9:10], v[55:56]
	v_fma_f64 v[9:10], v[85:86], -0.5, v[9:10]
	v_add_f64_e64 v[83:84], v[101:102], -v[45:46]
	v_add_f64_e32 v[79:80], v[81:82], v[51:52]
	v_fma_f64 v[26:27], v[69:70], v[91:92], v[26:27]
	v_add_f64_e32 v[69:70], v[17:18], v[15:16]
	v_fma_f64 v[1:2], v[65:66], -0.5, v[1:2]
	v_add_f64_e32 v[65:66], v[3:4], v[17:18]
	v_add_f64_e64 v[17:18], v[17:18], -v[15:16]
	v_add_f64_e32 v[32:33], v[93:94], v[32:33]
	v_add_f64_e64 v[81:82], v[81:82], -v[51:52]
	v_add_f64_e32 v[51:52], v[109:110], v[51:52]
	v_fma_f64 v[11:12], v[87:88], -0.5, v[11:12]
	v_add_f64_e32 v[57:58], v[19:20], v[57:58]
	v_add_f64_e32 v[53:54], v[67:68], v[53:54]
	v_fma_f64 v[67:68], v[95:96], s[6:7], v[7:8]
	v_add_f64_e32 v[55:56], v[55:56], v[97:98]
	v_fma_f64 v[5:6], v[79:80], -0.5, v[5:6]
	v_add_f64_e32 v[91:92], v[63:64], v[26:27]
	v_fma_f64 v[3:4], v[69:70], -0.5, v[3:4]
	;; [unrolled: 2-line block ×4, first 2 shown]
	v_add_f64_e64 v[75:76], v[47:48], -v[71:72]
	v_add_f64_e64 v[79:80], v[63:64], -v[26:27]
	v_add_f64_e32 v[47:48], v[13:14], v[47:48]
	v_add_f64_e64 v[49:50], v[49:50], -v[77:78]
	v_fma_f64 v[13:14], v[89:90], -0.5, v[13:14]
	v_add_f64_e32 v[63:64], v[99:100], v[63:64]
	v_fma_f64 v[87:88], v[103:104], s[2:3], v[1:2]
	v_fma_f64 v[0:1], v[103:104], s[6:7], v[1:2]
	v_add_f64_e32 v[15:16], v[65:66], v[15:16]
	v_and_b32_e32 v25, 0xffff, v59
	s_wait_alu 0xf1ff
	v_cndmask_b32_e64 v59, 0, 0x25f8, s0
	v_fma_f64 v[89:90], v[17:18], s[2:3], v[9:10]
	s_delay_alu instid0(VALU_DEP_3) | instskip(NEXT) | instid1(VALU_DEP_3)
	v_mul_u32_u24_e32 v25, 0x25f8, v25
	v_add3_u32 v59, 0, v59, v112
	s_delay_alu instid0(VALU_DEP_2)
	v_add3_u32 v28, 0, v25, v28
	v_fma_f64 v[85:86], v[91:92], -0.5, v[99:100]
	v_fma_f64 v[65:66], v[105:106], s[2:3], v[3:4]
	v_fma_f64 v[2:3], v[105:106], s[6:7], v[3:4]
	v_add_f64_e32 v[45:46], v[69:70], v[45:46]
	v_fma_f64 v[69:70], v[107:108], s[2:3], v[21:22]
	v_fma_f64 v[21:22], v[107:108], s[6:7], v[21:22]
	v_add_f64_e32 v[73:74], v[73:74], v[77:78]
	v_fma_f64 v[77:78], v[75:76], s[2:3], v[23:24]
	v_fma_f64 v[23:24], v[75:76], s[6:7], v[23:24]
	;; [unrolled: 1-line block ×4, first 2 shown]
	v_add_f64_e32 v[47:48], v[47:48], v[71:72]
	v_fma_f64 v[71:72], v[95:96], s[2:3], v[7:8]
	v_fma_f64 v[79:80], v[17:18], s[6:7], v[9:10]
	;; [unrolled: 1-line block ×6, first 2 shown]
	v_lshl_add_u32 v99, v62, 3, 0
	v_lshl_add_u32 v100, v111, 3, 0
	v_add_f64_e32 v[63:64], v[63:64], v[26:27]
	ds_store_b64 v34, v[32:33]
	ds_store_b64 v34, v[87:88] offset:3240
	ds_store_b64 v34, v[0:1] offset:6480
	ds_store_b64 v59, v[15:16]
	ds_store_b64 v59, v[65:66] offset:3240
	ds_store_b64 v59, v[2:3] offset:6480
	;; [unrolled: 1-line block ×5, first 2 shown]
	ds_store_b64 v28, v[73:74]
	ds_store_b64 v28, v[77:78] offset:3240
	ds_store_b64 v28, v[23:24] offset:6480
	;; [unrolled: 1-line block ×5, first 2 shown]
	global_wb scope:SCOPE_SE
	s_wait_dscnt 0x0
	s_barrier_signal -1
	s_barrier_wait -1
	global_inv scope:SCOPE_SE
	ds_load_2addr_b64 v[4:7], v34 offset1:243
	ds_load_2addr_b64 v[0:3], v36 offset0:12 offset1:255
	ds_load_2addr_b64 v[12:15], v37 offset0:6 offset1:249
	;; [unrolled: 1-line block ×6, first 2 shown]
	ds_load_b64 v[32:33], v34 offset:27216
	v_fma_f64 v[95:96], v[81:82], s[6:7], v[85:86]
	v_fma_f64 v[81:82], v[81:82], s[2:3], v[85:86]
	global_wb scope:SCOPE_SE
	s_wait_dscnt 0x0
	s_barrier_signal -1
	s_barrier_wait -1
	global_inv scope:SCOPE_SE
	ds_store_b64 v34, v[53:54]
	ds_store_b64 v34, v[67:68] offset:3240
	ds_store_b64 v34, v[71:72] offset:6480
	ds_store_b64 v59, v[55:56]
	ds_store_b64 v59, v[79:80] offset:3240
	ds_store_b64 v59, v[89:90] offset:6480
	;; [unrolled: 1-line block ×5, first 2 shown]
	ds_store_b64 v28, v[47:48]
	ds_store_b64 v28, v[93:94] offset:3240
	ds_store_b64 v28, v[49:50] offset:6480
	;; [unrolled: 1-line block ×5, first 2 shown]
	global_wb scope:SCOPE_SE
	s_wait_dscnt 0x0
	s_barrier_signal -1
	s_barrier_wait -1
	global_inv scope:SCOPE_SE
	s_and_saveexec_b32 s0, vcc_lo
	s_cbranch_execz .LBB0_13
; %bb.12:
	s_clause 0x1
	global_load_b128 v[45:48], v[30:31], off offset:19360
	global_load_b128 v[49:52], v[30:31], off offset:19376
	v_lshlrev_b32_e32 v28, 1, v42
	s_delay_alu instid0(VALU_DEP_1) | instskip(SKIP_1) | instid1(VALU_DEP_1)
	v_lshlrev_b64_e32 v[30:31], 4, v[28:29]
	v_lshlrev_b32_e32 v28, 1, v44
	v_lshlrev_b64_e32 v[57:58], 4, v[28:29]
	v_lshlrev_b32_e32 v28, 1, v43
	s_delay_alu instid0(VALU_DEP_4) | instskip(SKIP_2) | instid1(VALU_DEP_3)
	v_add_co_u32 v30, vcc_lo, s4, v30
	s_wait_alu 0xfffd
	v_add_co_ci_u32_e32 v31, vcc_lo, s5, v31, vcc_lo
	v_lshlrev_b64_e32 v[43:44], 4, v[28:29]
	v_lshlrev_b32_e32 v28, 1, v41
	v_add_co_u32 v57, vcc_lo, s4, v57
	s_wait_alu 0xfffd
	v_add_co_ci_u32_e32 v58, vcc_lo, s5, v58, vcc_lo
	s_delay_alu instid0(VALU_DEP_3)
	v_lshlrev_b64_e32 v[75:76], 4, v[28:29]
	v_add_co_u32 v43, vcc_lo, s4, v43
	s_wait_alu 0xfffd
	v_add_co_ci_u32_e32 v44, vcc_lo, s5, v44, vcc_lo
	s_clause 0x3
	global_load_b128 v[53:56], v[30:31], off offset:19360
	global_load_b128 v[63:66], v[57:58], off offset:19360
	;; [unrolled: 1-line block ×4, first 2 shown]
	v_add_co_u32 v57, vcc_lo, s4, v75
	s_wait_alu 0xfffd
	v_add_co_ci_u32_e32 v58, vcc_lo, s5, v76, vcc_lo
	s_clause 0x3
	global_load_b128 v[75:78], v[43:44], off offset:19376
	global_load_b128 v[79:82], v[57:58], off offset:19360
	;; [unrolled: 1-line block ×4, first 2 shown]
	ds_load_2addr_b64 v[91:94], v36 offset0:12 offset1:255
	ds_load_2addr_b64 v[95:98], v37 offset0:6 offset1:249
	v_mul_hi_u32 v28, 0x1af83441, v42
	v_add_co_u32 v60, vcc_lo, s8, v60
	s_wait_alu 0xfffd
	v_add_co_ci_u32_e32 v61, vcc_lo, s9, v61, vcc_lo
	s_delay_alu instid0(VALU_DEP_3) | instskip(NEXT) | instid1(VALU_DEP_1)
	v_lshrrev_b32_e32 v28, 7, v28
	v_mul_u32_u24_e32 v28, 0x97e, v28
	s_wait_loadcnt_dscnt 0x901
	v_mul_f64_e32 v[30:31], v[47:48], v[93:94]
	v_mul_f64_e32 v[43:44], v[45:46], v[93:94]
	s_wait_loadcnt_dscnt 0x800
	v_mul_f64_e32 v[57:58], v[51:52], v[95:96]
	v_mul_f64_e32 v[103:104], v[49:50], v[95:96]
	ds_load_2addr_b64 v[93:96], v40 offset0:8 offset1:251
	ds_load_2addr_b64 v[99:102], v39 offset0:4 offset1:247
	;; [unrolled: 1-line block ×3, first 2 shown]
	ds_load_b64 v[40:41], v34 offset:27216
	s_wait_loadcnt_dscnt 0x603
	v_mul_f64_e32 v[107:108], v[65:66], v[93:94]
	v_mul_f64_e32 v[93:94], v[63:64], v[93:94]
	s_wait_loadcnt_dscnt 0x502
	v_mul_f64_e32 v[109:110], v[69:70], v[101:102]
	v_mul_f64_e32 v[105:106], v[55:56], v[95:96]
	;; [unrolled: 1-line block ×3, first 2 shown]
	v_fma_f64 v[30:31], v[2:3], v[45:46], -v[30:31]
	v_fma_f64 v[2:3], v[2:3], v[47:48], v[43:44]
	v_mul_f64_e32 v[43:44], v[67:68], v[101:102]
	s_wait_loadcnt_dscnt 0x401
	v_mul_f64_e32 v[45:46], v[73:74], v[38:39]
	v_fma_f64 v[47:48], v[12:13], v[49:50], -v[57:58]
	v_fma_f64 v[49:50], v[12:13], v[51:52], v[103:104]
	s_wait_loadcnt 0x3
	v_mul_f64_e32 v[12:13], v[77:78], v[99:100]
	v_mul_f64_e32 v[38:39], v[71:72], v[38:39]
	;; [unrolled: 1-line block ×3, first 2 shown]
	s_wait_loadcnt 0x2
	v_mul_f64_e32 v[57:58], v[81:82], v[36:37]
	v_mul_f64_e32 v[36:37], v[79:80], v[36:37]
	s_wait_loadcnt 0x1
	v_mul_f64_e32 v[99:100], v[85:86], v[97:98]
	v_mul_f64_e32 v[97:98], v[83:84], v[97:98]
	s_wait_loadcnt_dscnt 0x0
	v_mul_f64_e32 v[101:102], v[87:88], v[40:41]
	v_mul_f64_e32 v[40:41], v[89:90], v[40:41]
	v_fma_f64 v[63:64], v[20:21], v[63:64], -v[107:108]
	v_fma_f64 v[20:21], v[20:21], v[65:66], v[93:94]
	v_fma_f64 v[67:68], v[26:27], v[67:68], -v[109:110]
	v_fma_f64 v[55:56], v[22:23], v[55:56], v[95:96]
	;; [unrolled: 2-line block ×3, first 2 shown]
	v_fma_f64 v[43:44], v[18:19], v[71:72], -v[45:46]
	v_add_f64_e32 v[53:54], v[30:31], v[47:48]
	v_fma_f64 v[38:39], v[18:19], v[73:74], v[38:39]
	v_fma_f64 v[45:46], v[24:25], v[77:78], v[51:52]
	v_fma_f64 v[24:25], v[24:25], v[75:76], -v[12:13]
	v_fma_f64 v[51:52], v[16:17], v[79:80], -v[57:58]
	v_fma_f64 v[36:37], v[16:17], v[81:82], v[36:37]
	v_fma_f64 v[57:58], v[14:15], v[85:86], v[97:98]
	;; [unrolled: 1-line block ×3, first 2 shown]
	v_fma_f64 v[65:66], v[14:15], v[83:84], -v[99:100]
	v_fma_f64 v[32:33], v[32:33], v[87:88], -v[40:41]
	v_add_f64_e32 v[40:41], v[2:3], v[49:50]
	ds_load_2addr_b64 v[12:15], v34 offset1:243
	ds_load_2addr_b64 v[16:19], v35 offset0:6 offset1:249
	v_add_f64_e64 v[83:84], v[30:31], -v[47:48]
	v_add_f64_e32 v[30:31], v[4:5], v[30:31]
	v_add_f64_e64 v[87:88], v[2:3], -v[49:50]
	v_add_f64_e32 v[73:74], v[63:64], v[67:68]
	v_add_f64_e64 v[97:98], v[63:64], -v[67:68]
	v_add_f64_e32 v[63:64], v[10:11], v[63:64]
	v_add_f64_e32 v[95:96], v[55:56], v[91:92]
	s_wait_dscnt 0x1
	v_add_f64_e32 v[85:86], v[2:3], v[12:13]
	s_wait_dscnt 0x0
	v_add_f64_e32 v[99:100], v[20:21], v[18:19]
	v_add_f64_e32 v[71:72], v[20:21], v[26:27]
	;; [unrolled: 1-line block ×3, first 2 shown]
	v_add_f64_e64 v[109:110], v[20:21], -v[26:27]
	v_fma_f64 v[53:54], v[53:54], -0.5, v[4:5]
	v_add_f64_e32 v[101:102], v[38:39], v[16:17]
	v_add_f64_e32 v[75:76], v[38:39], v[45:46]
	;; [unrolled: 1-line block ×9, first 2 shown]
	v_add_f64_e64 v[93:94], v[22:23], -v[32:33]
	v_add_f64_e32 v[22:23], v[0:1], v[22:23]
	v_fma_f64 v[40:41], v[40:41], -0.5, v[12:13]
	v_add_f64_e64 v[111:112], v[43:44], -v[24:25]
	v_add_f64_e64 v[113:114], v[36:37], -v[57:58]
	;; [unrolled: 1-line block ×3, first 2 shown]
	v_fma_f64 v[73:74], v[73:74], -0.5, v[10:11]
	v_add_f64_e32 v[2:3], v[49:50], v[85:86]
	v_add_f64_e32 v[10:11], v[26:27], v[99:100]
	v_fma_f64 v[43:44], v[71:72], -0.5, v[18:19]
	v_add_f64_e64 v[71:72], v[38:39], -v[45:46]
	v_add_f64_e32 v[12:13], v[103:104], v[24:25]
	v_fma_f64 v[24:25], v[87:88], s[2:3], v[53:54]
	v_fma_f64 v[20:21], v[87:88], s[6:7], v[53:54]
	v_fma_f64 v[75:76], v[75:76], -0.5, v[16:17]
	v_fma_f64 v[77:78], v[77:78], -0.5, v[8:9]
	v_add_f64_e32 v[8:9], v[63:64], v[67:68]
	v_mov_b32_e32 v63, v29
	v_fma_f64 v[115:116], v[34:35], -0.5, v[14:15]
	v_fma_f64 v[69:70], v[69:70], -0.5, v[91:92]
	v_add_f64_e64 v[91:92], v[51:52], -v[65:66]
	v_fma_f64 v[79:80], v[79:80], -0.5, v[6:7]
	v_fma_f64 v[81:82], v[81:82], -0.5, v[0:1]
	v_add_f64_e32 v[14:15], v[45:46], v[101:102]
	v_add_f64_e32 v[0:1], v[30:31], v[47:48]
	v_add_f64_e32 v[18:19], v[57:58], v[105:106]
	v_add_f64_e32 v[16:17], v[107:108], v[65:66]
	v_add_f64_e32 v[4:5], v[22:23], v[32:33]
	v_fma_f64 v[22:23], v[83:84], s[2:3], v[40:41]
	v_fma_f64 v[26:27], v[83:84], s[6:7], v[40:41]
	v_add_f64_e32 v[6:7], v[89:90], v[95:96]
	v_lshlrev_b64_e32 v[58:59], 4, v[62:63]
	v_lshlrev_b64_e32 v[28:29], 4, v[28:29]
	v_fma_f64 v[38:39], v[109:110], s[2:3], v[73:74]
	v_fma_f64 v[34:35], v[109:110], s[6:7], v[73:74]
	s_delay_alu instid0(VALU_DEP_4) | instskip(SKIP_2) | instid1(VALU_DEP_2)
	v_add_co_u32 v58, vcc_lo, v60, v58
	s_wait_alu 0xfffd
	v_add_co_ci_u32_e32 v59, vcc_lo, v61, v59, vcc_lo
	v_add_co_u32 v28, vcc_lo, v58, v28
	v_fma_f64 v[36:37], v[97:98], s[2:3], v[43:44]
	v_fma_f64 v[40:41], v[97:98], s[6:7], v[43:44]
	s_wait_alu 0xfffd
	v_add_co_ci_u32_e32 v29, vcc_lo, v59, v29, vcc_lo
	v_fma_f64 v[44:45], v[111:112], s[6:7], v[75:76]
	v_fma_f64 v[42:43], v[71:72], s[2:3], v[77:78]
	;; [unrolled: 1-line block ×12, first 2 shown]
	s_clause 0xe
	global_store_b128 v[58:59], v[12:15], off offset:7776
	global_store_b128 v[58:59], v[8:11], off offset:11664
	global_store_b128 v[58:59], v[0:3], off
	global_store_b128 v[58:59], v[16:19], off offset:3888
	global_store_b128 v[58:59], v[42:45], off offset:27216
	;; [unrolled: 1-line block ×12, first 2 shown]
.LBB0_13:
	s_nop 0
	s_sendmsg sendmsg(MSG_DEALLOC_VGPRS)
	s_endpgm
	.section	.rodata,"a",@progbits
	.p2align	6, 0x0
	.amdhsa_kernel fft_rtc_fwd_len3645_factors_5_3_3_3_3_3_3_wgs_243_tpt_243_halfLds_dp_ip_CI_unitstride_sbrr_dirReg
		.amdhsa_group_segment_fixed_size 0
		.amdhsa_private_segment_fixed_size 0
		.amdhsa_kernarg_size 88
		.amdhsa_user_sgpr_count 2
		.amdhsa_user_sgpr_dispatch_ptr 0
		.amdhsa_user_sgpr_queue_ptr 0
		.amdhsa_user_sgpr_kernarg_segment_ptr 1
		.amdhsa_user_sgpr_dispatch_id 0
		.amdhsa_user_sgpr_private_segment_size 0
		.amdhsa_wavefront_size32 1
		.amdhsa_uses_dynamic_stack 0
		.amdhsa_enable_private_segment 0
		.amdhsa_system_sgpr_workgroup_id_x 1
		.amdhsa_system_sgpr_workgroup_id_y 0
		.amdhsa_system_sgpr_workgroup_id_z 0
		.amdhsa_system_sgpr_workgroup_info 0
		.amdhsa_system_vgpr_workitem_id 0
		.amdhsa_next_free_vgpr 119
		.amdhsa_next_free_sgpr 32
		.amdhsa_reserve_vcc 1
		.amdhsa_float_round_mode_32 0
		.amdhsa_float_round_mode_16_64 0
		.amdhsa_float_denorm_mode_32 3
		.amdhsa_float_denorm_mode_16_64 3
		.amdhsa_fp16_overflow 0
		.amdhsa_workgroup_processor_mode 1
		.amdhsa_memory_ordered 1
		.amdhsa_forward_progress 0
		.amdhsa_round_robin_scheduling 0
		.amdhsa_exception_fp_ieee_invalid_op 0
		.amdhsa_exception_fp_denorm_src 0
		.amdhsa_exception_fp_ieee_div_zero 0
		.amdhsa_exception_fp_ieee_overflow 0
		.amdhsa_exception_fp_ieee_underflow 0
		.amdhsa_exception_fp_ieee_inexact 0
		.amdhsa_exception_int_div_zero 0
	.end_amdhsa_kernel
	.text
.Lfunc_end0:
	.size	fft_rtc_fwd_len3645_factors_5_3_3_3_3_3_3_wgs_243_tpt_243_halfLds_dp_ip_CI_unitstride_sbrr_dirReg, .Lfunc_end0-fft_rtc_fwd_len3645_factors_5_3_3_3_3_3_3_wgs_243_tpt_243_halfLds_dp_ip_CI_unitstride_sbrr_dirReg
                                        ; -- End function
	.section	.AMDGPU.csdata,"",@progbits
; Kernel info:
; codeLenInByte = 13012
; NumSgprs: 34
; NumVgprs: 119
; ScratchSize: 0
; MemoryBound: 1
; FloatMode: 240
; IeeeMode: 1
; LDSByteSize: 0 bytes/workgroup (compile time only)
; SGPRBlocks: 4
; VGPRBlocks: 14
; NumSGPRsForWavesPerEU: 34
; NumVGPRsForWavesPerEU: 119
; Occupancy: 12
; WaveLimiterHint : 1
; COMPUTE_PGM_RSRC2:SCRATCH_EN: 0
; COMPUTE_PGM_RSRC2:USER_SGPR: 2
; COMPUTE_PGM_RSRC2:TRAP_HANDLER: 0
; COMPUTE_PGM_RSRC2:TGID_X_EN: 1
; COMPUTE_PGM_RSRC2:TGID_Y_EN: 0
; COMPUTE_PGM_RSRC2:TGID_Z_EN: 0
; COMPUTE_PGM_RSRC2:TIDIG_COMP_CNT: 0
	.text
	.p2alignl 7, 3214868480
	.fill 96, 4, 3214868480
	.type	__hip_cuid_627a6f7bf10e7d7d,@object ; @__hip_cuid_627a6f7bf10e7d7d
	.section	.bss,"aw",@nobits
	.globl	__hip_cuid_627a6f7bf10e7d7d
__hip_cuid_627a6f7bf10e7d7d:
	.byte	0                               ; 0x0
	.size	__hip_cuid_627a6f7bf10e7d7d, 1

	.ident	"AMD clang version 19.0.0git (https://github.com/RadeonOpenCompute/llvm-project roc-6.4.0 25133 c7fe45cf4b819c5991fe208aaa96edf142730f1d)"
	.section	".note.GNU-stack","",@progbits
	.addrsig
	.addrsig_sym __hip_cuid_627a6f7bf10e7d7d
	.amdgpu_metadata
---
amdhsa.kernels:
  - .args:
      - .actual_access:  read_only
        .address_space:  global
        .offset:         0
        .size:           8
        .value_kind:     global_buffer
      - .offset:         8
        .size:           8
        .value_kind:     by_value
      - .actual_access:  read_only
        .address_space:  global
        .offset:         16
        .size:           8
        .value_kind:     global_buffer
      - .actual_access:  read_only
        .address_space:  global
        .offset:         24
        .size:           8
        .value_kind:     global_buffer
      - .offset:         32
        .size:           8
        .value_kind:     by_value
      - .actual_access:  read_only
        .address_space:  global
        .offset:         40
        .size:           8
        .value_kind:     global_buffer
      - .actual_access:  read_only
        .address_space:  global
        .offset:         48
        .size:           8
        .value_kind:     global_buffer
      - .offset:         56
        .size:           4
        .value_kind:     by_value
      - .actual_access:  read_only
        .address_space:  global
        .offset:         64
        .size:           8
        .value_kind:     global_buffer
      - .actual_access:  read_only
        .address_space:  global
        .offset:         72
        .size:           8
        .value_kind:     global_buffer
      - .address_space:  global
        .offset:         80
        .size:           8
        .value_kind:     global_buffer
    .group_segment_fixed_size: 0
    .kernarg_segment_align: 8
    .kernarg_segment_size: 88
    .language:       OpenCL C
    .language_version:
      - 2
      - 0
    .max_flat_workgroup_size: 243
    .name:           fft_rtc_fwd_len3645_factors_5_3_3_3_3_3_3_wgs_243_tpt_243_halfLds_dp_ip_CI_unitstride_sbrr_dirReg
    .private_segment_fixed_size: 0
    .sgpr_count:     34
    .sgpr_spill_count: 0
    .symbol:         fft_rtc_fwd_len3645_factors_5_3_3_3_3_3_3_wgs_243_tpt_243_halfLds_dp_ip_CI_unitstride_sbrr_dirReg.kd
    .uniform_work_group_size: 1
    .uses_dynamic_stack: false
    .vgpr_count:     119
    .vgpr_spill_count: 0
    .wavefront_size: 32
    .workgroup_processor_mode: 1
amdhsa.target:   amdgcn-amd-amdhsa--gfx1201
amdhsa.version:
  - 1
  - 2
...

	.end_amdgpu_metadata
